;; amdgpu-corpus repo=ROCm/rocFFT kind=compiled arch=gfx906 opt=O3
	.text
	.amdgcn_target "amdgcn-amd-amdhsa--gfx906"
	.amdhsa_code_object_version 6
	.protected	fft_rtc_back_len121_factors_11_11_wgs_121_tpt_11_dp_op_CI_CI_sbcc_twdbase6_3step_dirReg ; -- Begin function fft_rtc_back_len121_factors_11_11_wgs_121_tpt_11_dp_op_CI_CI_sbcc_twdbase6_3step_dirReg
	.globl	fft_rtc_back_len121_factors_11_11_wgs_121_tpt_11_dp_op_CI_CI_sbcc_twdbase6_3step_dirReg
	.p2align	8
	.type	fft_rtc_back_len121_factors_11_11_wgs_121_tpt_11_dp_op_CI_CI_sbcc_twdbase6_3step_dirReg,@function
fft_rtc_back_len121_factors_11_11_wgs_121_tpt_11_dp_op_CI_CI_sbcc_twdbase6_3step_dirReg: ; @fft_rtc_back_len121_factors_11_11_wgs_121_tpt_11_dp_op_CI_CI_sbcc_twdbase6_3step_dirReg
; %bb.0:
	s_load_dwordx2 s[42:43], s[4:5], 0x0
	s_load_dwordx8 s[8:15], s[4:5], 0x8
	s_load_dwordx4 s[20:23], s[4:5], 0x60
	s_load_dwordx2 s[28:29], s[4:5], 0x28
	s_movk_i32 s0, 0xc0
	v_cmp_gt_u32_e32 vcc, s0, v0
	s_and_saveexec_b64 s[2:3], vcc
	s_cbranch_execz .LBB0_3
; %bb.1:
	v_add_co_u32_e32 v1, vcc, 0xffffff87, v0
	v_lshlrev_b32_e32 v5, 4, v0
	v_addc_co_u32_e64 v2, s[0:1], 0, -1, vcc
	s_waitcnt lgkmcnt(0)
	v_mov_b32_e32 v4, s9
	v_add_co_u32_e32 v3, vcc, s8, v5
	v_add_u32_e32 v5, 0, v5
	v_addc_co_u32_e32 v4, vcc, 0, v4, vcc
	v_add_u32_e32 v5, 0x5330, v5
	s_mov_b64 s[4:5], 0x46
	s_mov_b64 s[8:9], 0
.LBB0_2:                                ; =>This Inner Loop Header: Depth=1
	global_load_dwordx4 v[6:9], v[3:4], off
	v_add_co_u32_e32 v1, vcc, 0x79, v1
	v_addc_co_u32_e32 v2, vcc, 0, v2, vcc
	v_cmp_lt_u64_e64 s[0:1], s[4:5], v[1:2]
	v_add_co_u32_e32 v3, vcc, 0x790, v3
	v_addc_co_u32_e32 v4, vcc, 0, v4, vcc
	s_or_b64 s[8:9], s[0:1], s[8:9]
	s_waitcnt vmcnt(0)
	ds_write2_b64 v5, v[6:7], v[8:9] offset1:1
	v_add_u32_e32 v5, 0x790, v5
	s_andn2_b64 exec, exec, s[8:9]
	s_cbranch_execnz .LBB0_2
.LBB0_3:
	s_or_b64 exec, exec, s[2:3]
	s_waitcnt lgkmcnt(0)
	s_load_dwordx2 s[8:9], s[12:13], 0x8
	s_mov_b32 s7, 0
	s_waitcnt lgkmcnt(0)
	s_add_u32 s0, s8, -1
	s_addc_u32 s1, s9, -1
	s_add_u32 s2, 0, 0x5d161400
	s_addc_u32 s3, 0, 0x54
	s_mul_hi_u32 s5, s2, -11
	s_add_i32 s3, s3, 0x1745d120
	s_sub_i32 s5, s5, s2
	s_mul_i32 s18, s3, -11
	s_mul_i32 s4, s2, -11
	s_add_i32 s5, s5, s18
	s_mul_hi_u32 s16, s3, s4
	s_mul_i32 s17, s3, s4
	s_mul_i32 s19, s2, s5
	s_mul_hi_u32 s4, s2, s4
	s_mul_hi_u32 s18, s2, s5
	s_add_u32 s4, s4, s19
	s_addc_u32 s18, 0, s18
	s_add_u32 s4, s4, s17
	s_mul_hi_u32 s19, s3, s5
	s_addc_u32 s4, s18, s16
	s_addc_u32 s16, s19, 0
	s_mul_i32 s5, s3, s5
	s_add_u32 s4, s4, s5
	v_mov_b32_e32 v1, s4
	s_addc_u32 s5, 0, s16
	v_add_co_u32_e32 v1, vcc, s2, v1
	s_cmp_lg_u64 vcc, 0
	s_addc_u32 s2, s3, s5
	v_readfirstlane_b32 s5, v1
	s_mul_i32 s4, s0, s2
	s_mul_hi_u32 s16, s0, s5
	s_mul_hi_u32 s3, s0, s2
	s_add_u32 s4, s16, s4
	s_addc_u32 s3, 0, s3
	s_mul_hi_u32 s17, s1, s5
	s_mul_i32 s5, s1, s5
	s_add_u32 s4, s4, s5
	s_mul_hi_u32 s16, s1, s2
	s_addc_u32 s3, s3, s17
	s_addc_u32 s4, s16, 0
	s_mul_i32 s2, s1, s2
	s_add_u32 s2, s3, s2
	s_addc_u32 s3, 0, s4
	s_add_u32 s4, s2, 1
	s_addc_u32 s5, s3, 0
	s_add_u32 s16, s2, 2
	s_mul_i32 s18, s3, 11
	s_mul_hi_u32 s19, s2, 11
	s_addc_u32 s17, s3, 0
	s_add_i32 s19, s19, s18
	s_mul_i32 s18, s2, 11
	v_mov_b32_e32 v1, s18
	v_sub_co_u32_e32 v1, vcc, s0, v1
	s_cmp_lg_u64 vcc, 0
	s_subb_u32 s0, s1, s19
	v_subrev_co_u32_e32 v2, vcc, 11, v1
	s_cmp_lg_u64 vcc, 0
	s_subb_u32 s1, s0, 0
	v_readfirstlane_b32 s18, v2
	s_cmp_gt_u32 s18, 10
	s_cselect_b32 s18, -1, 0
	s_cmp_eq_u32 s1, 0
	s_cselect_b32 s1, s18, -1
	s_cmp_lg_u32 s1, 0
	s_cselect_b32 s1, s16, s4
	s_cselect_b32 s4, s17, s5
	v_readfirstlane_b32 s5, v1
	s_cmp_gt_u32 s5, 10
	s_cselect_b32 s5, -1, 0
	s_cmp_eq_u32 s0, 0
	s_cselect_b32 s0, s5, -1
	s_cmp_lg_u32 s0, 0
	s_cselect_b32 s1, s1, s2
	s_cselect_b32 s0, s4, s3
	s_add_u32 s34, s1, 1
	s_addc_u32 s35, s0, 0
	v_mov_b32_e32 v1, s34
	v_mov_b32_e32 v2, s35
	v_cmp_lt_u64_e32 vcc, s[6:7], v[1:2]
	s_mov_b64 s[4:5], 0
	s_cbranch_vccnz .LBB0_5
; %bb.4:
	v_cvt_f32_u32_e32 v1, s34
	s_sub_i32 s0, 0, s34
	s_mov_b32 s5, s7
	v_rcp_iflag_f32_e32 v1, v1
	v_mul_f32_e32 v1, 0x4f7ffffe, v1
	v_cvt_u32_f32_e32 v1, v1
	v_readfirstlane_b32 s1, v1
	s_mul_i32 s0, s0, s1
	s_mul_hi_u32 s0, s1, s0
	s_add_i32 s1, s1, s0
	s_mul_hi_u32 s0, s6, s1
	s_mul_i32 s2, s0, s34
	s_sub_i32 s2, s6, s2
	s_add_i32 s1, s0, 1
	s_sub_i32 s3, s2, s34
	s_cmp_ge_u32 s2, s34
	s_cselect_b32 s0, s1, s0
	s_cselect_b32 s2, s3, s2
	s_add_i32 s1, s0, 1
	s_cmp_ge_u32 s2, s34
	s_cselect_b32 s4, s1, s0
.LBB0_5:
	s_mul_i32 s0, s4, s35
	s_mul_hi_u32 s1, s4, s34
	s_add_i32 s1, s1, s0
	s_mul_i32 s0, s4, s34
	s_load_dwordx4 s[24:27], s[14:15], 0x0
	s_load_dwordx4 s[16:19], s[28:29], 0x0
	s_sub_u32 s50, s6, s0
	s_subb_u32 s0, 0, s1
	s_mul_i32 s0, s0, 11
	s_mul_hi_u32 s33, s50, 11
	s_add_i32 s33, s33, s0
	s_mul_i32 s50, s50, 11
	s_waitcnt lgkmcnt(0)
	s_mul_i32 s0, s26, s33
	s_mul_hi_u32 s1, s26, s50
	s_add_i32 s0, s1, s0
	s_mul_i32 s1, s27, s50
	s_add_i32 s31, s0, s1
	s_mul_i32 s0, s18, s33
	s_mul_hi_u32 s1, s18, s50
	s_add_i32 s0, s1, s0
	s_mul_i32 s1, s19, s50
	s_add_i32 s3, s0, s1
	v_cmp_lt_u64_e64 s[0:1], s[10:11], 3
	s_mul_i32 s30, s26, s50
	s_mul_i32 s2, s18, s50
	s_and_b64 vcc, exec, s[0:1]
	s_cbranch_vccnz .LBB0_15
; %bb.6:
	s_add_u32 s36, s28, 16
	s_addc_u32 s37, s29, 0
	s_add_u32 s38, s14, 16
	s_addc_u32 s39, s15, 0
	s_add_u32 s12, s12, 16
	v_mov_b32_e32 v1, s10
	s_addc_u32 s13, s13, 0
	s_mov_b64 s[40:41], 2
	s_mov_b32 s44, 0
	v_mov_b32_e32 v2, s11
.LBB0_7:                                ; =>This Inner Loop Header: Depth=1
	s_load_dwordx2 s[46:47], s[12:13], 0x0
	s_waitcnt lgkmcnt(0)
	s_or_b64 s[0:1], s[4:5], s[46:47]
	s_mov_b32 s45, s1
	s_cmp_lg_u64 s[44:45], 0
	s_cbranch_scc0 .LBB0_12
; %bb.8:                                ;   in Loop: Header=BB0_7 Depth=1
	v_cvt_f32_u32_e32 v3, s46
	v_cvt_f32_u32_e32 v4, s47
	s_sub_u32 s0, 0, s46
	s_subb_u32 s1, 0, s47
	v_mac_f32_e32 v3, 0x4f800000, v4
	v_rcp_f32_e32 v3, v3
	v_mul_f32_e32 v3, 0x5f7ffffc, v3
	v_mul_f32_e32 v4, 0x2f800000, v3
	v_trunc_f32_e32 v4, v4
	v_mac_f32_e32 v3, 0xcf800000, v4
	v_cvt_u32_f32_e32 v4, v4
	v_cvt_u32_f32_e32 v3, v3
	v_readfirstlane_b32 s45, v4
	v_readfirstlane_b32 s48, v3
	s_mul_i32 s49, s0, s45
	s_mul_hi_u32 s52, s0, s48
	s_mul_i32 s51, s1, s48
	s_add_i32 s49, s52, s49
	s_mul_i32 s53, s0, s48
	s_add_i32 s49, s49, s51
	s_mul_hi_u32 s51, s48, s49
	s_mul_i32 s52, s48, s49
	s_mul_hi_u32 s48, s48, s53
	s_add_u32 s48, s48, s52
	s_addc_u32 s51, 0, s51
	s_mul_hi_u32 s54, s45, s53
	s_mul_i32 s53, s45, s53
	s_add_u32 s48, s48, s53
	s_mul_hi_u32 s52, s45, s49
	s_addc_u32 s48, s51, s54
	s_addc_u32 s51, s52, 0
	s_mul_i32 s49, s45, s49
	s_add_u32 s48, s48, s49
	s_addc_u32 s49, 0, s51
	v_add_co_u32_e32 v3, vcc, s48, v3
	s_cmp_lg_u64 vcc, 0
	s_addc_u32 s45, s45, s49
	v_readfirstlane_b32 s49, v3
	s_mul_i32 s48, s0, s45
	s_mul_hi_u32 s51, s0, s49
	s_add_i32 s48, s51, s48
	s_mul_i32 s1, s1, s49
	s_add_i32 s48, s48, s1
	s_mul_i32 s0, s0, s49
	s_mul_hi_u32 s51, s45, s0
	s_mul_i32 s52, s45, s0
	s_mul_i32 s54, s49, s48
	s_mul_hi_u32 s0, s49, s0
	s_mul_hi_u32 s53, s49, s48
	s_add_u32 s0, s0, s54
	s_addc_u32 s49, 0, s53
	s_add_u32 s0, s0, s52
	s_mul_hi_u32 s1, s45, s48
	s_addc_u32 s0, s49, s51
	s_addc_u32 s1, s1, 0
	s_mul_i32 s48, s45, s48
	s_add_u32 s0, s0, s48
	s_addc_u32 s1, 0, s1
	v_add_co_u32_e32 v3, vcc, s0, v3
	s_cmp_lg_u64 vcc, 0
	s_addc_u32 s0, s45, s1
	v_readfirstlane_b32 s48, v3
	s_mul_i32 s45, s4, s0
	s_mul_hi_u32 s49, s4, s48
	s_mul_hi_u32 s1, s4, s0
	s_add_u32 s45, s49, s45
	s_addc_u32 s1, 0, s1
	s_mul_hi_u32 s51, s5, s48
	s_mul_i32 s48, s5, s48
	s_add_u32 s45, s45, s48
	s_mul_hi_u32 s49, s5, s0
	s_addc_u32 s1, s1, s51
	s_addc_u32 s45, s49, 0
	s_mul_i32 s0, s5, s0
	s_add_u32 s48, s1, s0
	s_addc_u32 s45, 0, s45
	s_mul_i32 s0, s46, s45
	s_mul_hi_u32 s1, s46, s48
	s_add_i32 s0, s1, s0
	s_mul_i32 s1, s47, s48
	s_add_i32 s49, s0, s1
	s_mul_i32 s1, s46, s48
	v_mov_b32_e32 v3, s1
	s_sub_i32 s0, s5, s49
	v_sub_co_u32_e32 v3, vcc, s4, v3
	s_cmp_lg_u64 vcc, 0
	s_subb_u32 s51, s0, s47
	v_subrev_co_u32_e64 v4, s[0:1], s46, v3
	s_cmp_lg_u64 s[0:1], 0
	s_subb_u32 s0, s51, 0
	s_cmp_ge_u32 s0, s47
	v_readfirstlane_b32 s51, v4
	s_cselect_b32 s1, -1, 0
	s_cmp_ge_u32 s51, s46
	s_cselect_b32 s51, -1, 0
	s_cmp_eq_u32 s0, s47
	s_cselect_b32 s0, s51, s1
	s_add_u32 s1, s48, 1
	s_addc_u32 s51, s45, 0
	s_add_u32 s52, s48, 2
	s_addc_u32 s53, s45, 0
	s_cmp_lg_u32 s0, 0
	s_cselect_b32 s0, s52, s1
	s_cselect_b32 s1, s53, s51
	s_cmp_lg_u64 vcc, 0
	s_subb_u32 s49, s5, s49
	s_cmp_ge_u32 s49, s47
	v_readfirstlane_b32 s52, v3
	s_cselect_b32 s51, -1, 0
	s_cmp_ge_u32 s52, s46
	s_cselect_b32 s52, -1, 0
	s_cmp_eq_u32 s49, s47
	s_cselect_b32 s49, s52, s51
	s_cmp_lg_u32 s49, 0
	s_cselect_b32 s1, s1, s45
	s_cselect_b32 s0, s0, s48
	s_cbranch_execnz .LBB0_10
.LBB0_9:                                ;   in Loop: Header=BB0_7 Depth=1
	v_cvt_f32_u32_e32 v3, s46
	s_sub_i32 s0, 0, s46
	v_rcp_iflag_f32_e32 v3, v3
	v_mul_f32_e32 v3, 0x4f7ffffe, v3
	v_cvt_u32_f32_e32 v3, v3
	v_readfirstlane_b32 s1, v3
	s_mul_i32 s0, s0, s1
	s_mul_hi_u32 s0, s1, s0
	s_add_i32 s1, s1, s0
	s_mul_hi_u32 s0, s4, s1
	s_mul_i32 s45, s0, s46
	s_sub_i32 s45, s4, s45
	s_add_i32 s1, s0, 1
	s_sub_i32 s48, s45, s46
	s_cmp_ge_u32 s45, s46
	s_cselect_b32 s0, s1, s0
	s_cselect_b32 s45, s48, s45
	s_add_i32 s1, s0, 1
	s_cmp_ge_u32 s45, s46
	s_cselect_b32 s0, s1, s0
	s_mov_b32 s1, s44
.LBB0_10:                               ;   in Loop: Header=BB0_7 Depth=1
	s_mul_i32 s35, s46, s35
	s_mul_hi_u32 s45, s46, s34
	s_add_i32 s35, s45, s35
	s_mul_i32 s45, s47, s34
	s_add_i32 s35, s35, s45
	s_mul_i32 s45, s0, s47
	s_mul_hi_u32 s47, s0, s46
	s_load_dwordx2 s[48:49], s[38:39], 0x0
	s_add_i32 s45, s47, s45
	s_mul_i32 s47, s1, s46
	s_mul_i32 s34, s46, s34
	s_add_i32 s45, s45, s47
	s_mul_i32 s46, s0, s46
	s_sub_u32 s46, s4, s46
	s_subb_u32 s45, s5, s45
	s_waitcnt lgkmcnt(0)
	s_mul_i32 s4, s48, s45
	s_mul_hi_u32 s5, s48, s46
	s_add_i32 s47, s5, s4
	s_load_dwordx2 s[4:5], s[36:37], 0x0
	s_mul_i32 s49, s49, s46
	s_add_i32 s47, s47, s49
	s_mul_i32 s48, s48, s46
	s_add_u32 s30, s48, s30
	s_addc_u32 s31, s47, s31
	s_waitcnt lgkmcnt(0)
	s_mul_i32 s45, s4, s45
	s_mul_hi_u32 s47, s4, s46
	s_add_i32 s45, s47, s45
	s_mul_i32 s5, s5, s46
	s_add_i32 s45, s45, s5
	s_mul_i32 s4, s4, s46
	s_add_u32 s2, s4, s2
	s_addc_u32 s3, s45, s3
	s_add_u32 s40, s40, 1
	s_addc_u32 s41, s41, 0
	;; [unrolled: 2-line block ×4, first 2 shown]
	v_cmp_ge_u64_e32 vcc, s[40:41], v[1:2]
	s_add_u32 s12, s12, 8
	s_addc_u32 s13, s13, 0
	s_cbranch_vccnz .LBB0_13
; %bb.11:                               ;   in Loop: Header=BB0_7 Depth=1
	s_mov_b64 s[4:5], s[0:1]
	s_branch .LBB0_7
.LBB0_12:                               ;   in Loop: Header=BB0_7 Depth=1
                                        ; implicit-def: $sgpr0_sgpr1
	s_branch .LBB0_9
.LBB0_13:
	v_mov_b32_e32 v1, s34
	v_mov_b32_e32 v2, s35
	v_cmp_lt_u64_e32 vcc, s[6:7], v[1:2]
	s_mov_b64 s[4:5], 0
	s_cbranch_vccnz .LBB0_15
; %bb.14:
	v_cvt_f32_u32_e32 v1, s34
	s_sub_i32 s0, 0, s34
	v_rcp_iflag_f32_e32 v1, v1
	v_mul_f32_e32 v1, 0x4f7ffffe, v1
	v_cvt_u32_f32_e32 v1, v1
	v_readfirstlane_b32 s1, v1
	s_mul_i32 s0, s0, s1
	s_mul_hi_u32 s0, s1, s0
	s_add_i32 s1, s1, s0
	s_mul_hi_u32 s0, s6, s1
	s_mul_i32 s4, s0, s34
	s_sub_i32 s4, s6, s4
	s_add_i32 s1, s0, 1
	s_sub_i32 s5, s4, s34
	s_cmp_ge_u32 s4, s34
	s_cselect_b32 s0, s1, s0
	s_cselect_b32 s4, s5, s4
	s_add_i32 s1, s0, 1
	s_cmp_ge_u32 s4, s34
	s_cselect_b32 s4, s1, s0
.LBB0_15:
	s_mov_b32 s0, 0x1745d175
	v_mul_hi_u32 v45, v0, s0
	s_lshl_b64 s[6:7], s[10:11], 3
	s_add_u32 s40, s28, s6
	s_addc_u32 s41, s29, s7
	v_mul_u32_u24_e32 v1, 11, v45
	v_sub_u32_e32 v114, v0, v1
	v_mov_b32_e32 v1, s33
	v_add_co_u32_e32 v93, vcc, s50, v114
	v_addc_co_u32_e32 v94, vcc, 0, v1, vcc
	s_add_u32 s0, s50, 11
	v_mov_b32_e32 v1, s8
	s_addc_u32 s1, s33, 0
	v_mov_b32_e32 v2, s9
	v_cmp_le_u64_e32 vcc, s[0:1], v[1:2]
	v_cmp_gt_u64_e64 s[0:1], s[8:9], v[93:94]
                                        ; implicit-def: $vgpr7_vgpr8
                                        ; implicit-def: $vgpr11_vgpr12
                                        ; implicit-def: $vgpr15_vgpr16
                                        ; implicit-def: $vgpr27_vgpr28
                                        ; implicit-def: $vgpr19_vgpr20
                                        ; implicit-def: $vgpr23_vgpr24
                                        ; implicit-def: $vgpr35_vgpr36
                                        ; implicit-def: $vgpr39_vgpr40
                                        ; implicit-def: $vgpr31_vgpr32
                                        ; implicit-def: $vgpr43_vgpr44
                                        ; implicit-def: $vgpr3_vgpr4
	s_or_b64 s[44:45], vcc, s[0:1]
	s_and_saveexec_b64 s[0:1], s[44:45]
	s_cbranch_execz .LBB0_17
; %bb.16:
	s_add_u32 s6, s14, s6
	s_addc_u32 s7, s15, s7
	s_load_dwordx2 s[6:7], s[6:7], 0x0
	v_mad_u64_u32 v[1:2], s[8:9], s26, v114, 0
	v_mad_u64_u32 v[3:4], s[8:9], s24, v45, 0
	s_waitcnt lgkmcnt(0)
	s_mul_i32 s5, s7, s4
	s_mul_hi_u32 s7, s6, s4
	s_add_i32 s7, s7, s5
	s_mul_i32 s6, s6, s4
	v_mad_u64_u32 v[5:6], s[8:9], s27, v114, v[2:3]
	v_mov_b32_e32 v2, v4
	s_lshl_b64 s[6:7], s[6:7], 4
	v_mad_u64_u32 v[6:7], s[8:9], s25, v45, v[2:3]
	s_add_u32 s5, s20, s6
	s_addc_u32 s8, s21, s7
	s_lshl_b64 s[6:7], s[30:31], 4
	s_add_u32 s5, s5, s6
	s_addc_u32 s6, s8, s7
	v_add_u32_e32 v8, 11, v45
	v_mov_b32_e32 v2, v5
	v_mov_b32_e32 v4, v6
	;; [unrolled: 1-line block ×3, first 2 shown]
	v_mad_u64_u32 v[5:6], s[6:7], s24, v8, 0
	v_lshlrev_b64 v[1:2], 4, v[1:2]
	v_add_co_u32_e32 v9, vcc, s5, v1
	v_addc_co_u32_e32 v10, vcc, v7, v2, vcc
	v_lshlrev_b64 v[1:2], 4, v[3:4]
	v_mov_b32_e32 v3, v6
	v_mad_u64_u32 v[3:4], s[6:7], s25, v8, v[3:4]
	v_add_u32_e32 v4, 22, v45
	v_mad_u64_u32 v[7:8], s[6:7], s24, v4, 0
	v_add_co_u32_e32 v46, vcc, v9, v1
	v_mov_b32_e32 v6, v3
	v_mov_b32_e32 v3, v8
	v_addc_co_u32_e32 v47, vcc, v10, v2, vcc
	v_lshlrev_b64 v[1:2], 4, v[5:6]
	v_mad_u64_u32 v[3:4], s[6:7], s25, v4, v[3:4]
	v_add_u32_e32 v6, 33, v45
	v_mad_u64_u32 v[4:5], s[6:7], s24, v6, 0
	v_add_co_u32_e32 v48, vcc, v9, v1
	v_mov_b32_e32 v8, v3
	v_mov_b32_e32 v3, v5
	v_addc_co_u32_e32 v49, vcc, v10, v2, vcc
	v_lshlrev_b64 v[1:2], 4, v[7:8]
	v_mad_u64_u32 v[5:6], s[6:7], s25, v6, v[3:4]
	v_add_u32_e32 v8, 44, v45
	v_mad_u64_u32 v[6:7], s[6:7], s24, v8, 0
	v_add_co_u32_e32 v50, vcc, v9, v1
	v_mov_b32_e32 v3, v7
	v_addc_co_u32_e32 v51, vcc, v10, v2, vcc
	v_lshlrev_b64 v[1:2], 4, v[4:5]
	v_mad_u64_u32 v[3:4], s[6:7], s25, v8, v[3:4]
	v_add_u32_e32 v8, 55, v45
	v_mad_u64_u32 v[4:5], s[6:7], s24, v8, 0
	v_add_co_u32_e32 v52, vcc, v9, v1
	v_mov_b32_e32 v7, v3
	v_mov_b32_e32 v3, v5
	v_addc_co_u32_e32 v53, vcc, v10, v2, vcc
	v_lshlrev_b64 v[1:2], 4, v[6:7]
	v_mad_u64_u32 v[5:6], s[6:7], s25, v8, v[3:4]
	v_add_u32_e32 v8, 0x42, v45
	v_mad_u64_u32 v[6:7], s[6:7], s24, v8, 0
	v_add_co_u32_e32 v54, vcc, v9, v1
	;; [unrolled: 15-line block ×4, first 2 shown]
	v_mov_b32_e32 v3, v7
	v_addc_co_u32_e32 v63, vcc, v10, v2, vcc
	v_lshlrev_b64 v[1:2], 4, v[4:5]
	v_mad_u64_u32 v[3:4], s[6:7], s25, v8, v[3:4]
	v_add_co_u32_e32 v64, vcc, v9, v1
	v_mov_b32_e32 v7, v3
	v_addc_co_u32_e32 v65, vcc, v10, v2, vcc
	v_lshlrev_b64 v[1:2], 4, v[6:7]
	v_add_co_u32_e32 v66, vcc, v9, v1
	v_addc_co_u32_e32 v67, vcc, v10, v2, vcc
	global_load_dwordx4 v[1:4], v[46:47], off
	global_load_dwordx4 v[41:44], v[48:49], off
	;; [unrolled: 1-line block ×11, first 2 shown]
.LBB0_17:
	s_or_b64 exec, exec, s[0:1]
	s_waitcnt vmcnt(9)
	v_add_f64 v[46:47], v[41:42], v[1:2]
	v_add_f64 v[48:49], v[43:44], v[3:4]
	s_waitcnt vmcnt(0)
	v_add_f64 v[50:51], v[5:6], v[41:42]
	v_add_f64 v[52:53], v[7:8], v[43:44]
	v_add_f64 v[54:55], v[41:42], -v[5:6]
	v_add_f64 v[56:57], v[43:44], -v[7:8]
	v_add_f64 v[58:59], v[25:26], v[33:34]
	v_add_f64 v[60:61], v[27:28], v[35:36]
	;; [unrolled: 1-line block ×4, first 2 shown]
	s_mov_b32 s14, 0xf8bb580b
	s_mov_b32 s28, 0x8eee2c13
	;; [unrolled: 1-line block ×6, first 2 shown]
	v_add_f64 v[41:42], v[37:38], v[41:42]
	v_add_f64 v[43:44], v[39:40], v[43:44]
	s_mov_b32 s29, 0xbfed1bb4
	s_mov_b32 s13, 0xbfefac9e
	;; [unrolled: 1-line block ×4, first 2 shown]
	v_add_f64 v[62:63], v[9:10], v[29:30]
	v_add_f64 v[64:65], v[11:12], v[31:32]
	;; [unrolled: 1-line block ×4, first 2 shown]
	v_add_f64 v[33:34], v[33:34], -v[25:26]
	v_add_f64 v[35:36], v[35:36], -v[27:28]
	v_add_f64 v[41:42], v[13:14], v[37:38]
	v_add_f64 v[37:38], v[37:38], -v[13:14]
	v_add_f64 v[29:30], v[29:30], -v[9:10]
	;; [unrolled: 1-line block ×3, first 2 shown]
	v_add_f64 v[46:47], v[21:22], v[46:47]
	v_add_f64 v[48:49], v[23:24], v[43:44]
	;; [unrolled: 1-line block ×3, first 2 shown]
	v_add_f64 v[39:40], v[39:40], -v[15:16]
	v_add_f64 v[66:67], v[17:18], v[21:22]
	v_add_f64 v[68:69], v[23:24], -v[19:20]
	s_mov_b32 s0, 0x8764f0ba
	s_mov_b32 s6, 0xd9c712b6
	v_add_f64 v[46:47], v[17:18], v[46:47]
	v_add_f64 v[48:49], v[19:20], v[48:49]
	s_mov_b32 s8, 0x640f44db
	s_mov_b32 s10, 0x7f775887
	;; [unrolled: 1-line block ×6, first 2 shown]
	v_add_f64 v[25:26], v[25:26], v[46:47]
	v_add_f64 v[27:28], v[27:28], v[48:49]
	;; [unrolled: 1-line block ×3, first 2 shown]
	v_add_f64 v[48:49], v[21:22], -v[17:18]
	v_mul_f64 v[17:18], v[56:57], s[14:15]
	v_mul_f64 v[19:20], v[56:57], s[28:29]
	v_mul_f64 v[21:22], v[56:57], s[12:13]
	v_mul_f64 v[23:24], v[56:57], s[20:21]
	v_add_f64 v[13:14], v[13:14], v[25:26]
	v_add_f64 v[15:16], v[15:16], v[27:28]
	v_mul_f64 v[25:26], v[56:57], s[24:25]
	v_mul_f64 v[27:28], v[54:55], s[14:15]
	s_mov_b32 s11, 0xbfe4f49e
	s_mov_b32 s27, 0xbfeeb42a
	v_fma_f64 v[56:57], v[50:51], s[0:1], v[17:18]
	v_fma_f64 v[70:71], v[50:51], s[10:11], v[23:24]
	v_add_f64 v[9:10], v[9:10], v[13:14]
	v_add_f64 v[11:12], v[11:12], v[15:16]
	v_fma_f64 v[13:14], v[50:51], s[0:1], -v[17:18]
	v_fma_f64 v[15:16], v[50:51], s[6:7], v[19:20]
	v_fma_f64 v[17:18], v[50:51], s[6:7], -v[19:20]
	v_fma_f64 v[19:20], v[50:51], s[8:9], v[21:22]
	v_fma_f64 v[21:22], v[50:51], s[8:9], -v[21:22]
	v_mul_f64 v[72:73], v[54:55], s[12:13]
	v_add_f64 v[5:6], v[5:6], v[9:10]
	v_add_f64 v[7:8], v[7:8], v[11:12]
	v_fma_f64 v[9:10], v[50:51], s[10:11], -v[23:24]
	v_mul_f64 v[11:12], v[54:55], s[28:29]
	v_fma_f64 v[23:24], v[50:51], s[26:27], v[25:26]
	v_fma_f64 v[25:26], v[50:51], s[26:27], -v[25:26]
	v_mul_f64 v[50:51], v[54:55], s[20:21]
	v_mul_f64 v[54:55], v[54:55], s[24:25]
	v_fma_f64 v[74:75], v[52:53], s[0:1], -v[27:28]
	v_mul_f64 v[80:81], v[31:32], s[28:29]
	v_fma_f64 v[27:28], v[52:53], s[0:1], v[27:28]
	v_fma_f64 v[76:77], v[52:53], s[6:7], -v[11:12]
	v_fma_f64 v[11:12], v[52:53], s[6:7], v[11:12]
	v_fma_f64 v[78:79], v[52:53], s[8:9], -v[72:73]
	v_fma_f64 v[72:73], v[52:53], s[8:9], v[72:73]
	v_fma_f64 v[82:83], v[52:53], s[10:11], -v[50:51]
	v_fma_f64 v[50:51], v[52:53], s[10:11], v[50:51]
	v_fma_f64 v[84:85], v[52:53], s[26:27], -v[54:55]
	v_fma_f64 v[52:53], v[52:53], s[26:27], v[54:55]
	v_add_f64 v[54:55], v[1:2], v[56:57]
	v_add_f64 v[56:57], v[3:4], v[74:75]
	v_fma_f64 v[74:75], v[62:63], s[6:7], v[80:81]
	v_mul_f64 v[86:87], v[29:30], s[28:29]
	v_mul_f64 v[88:89], v[39:40], s[12:13]
	v_add_f64 v[90:91], v[3:4], v[11:12]
	v_mul_f64 v[94:95], v[37:38], s[12:13]
	v_mul_f64 v[96:97], v[35:36], s[20:21]
	;; [unrolled: 1-line block ×4, first 2 shown]
	v_add_f64 v[11:12], v[74:75], v[54:55]
	v_fma_f64 v[54:55], v[64:65], s[6:7], -v[86:87]
	v_fma_f64 v[74:75], v[41:42], s[8:9], v[88:89]
	v_add_f64 v[13:14], v[1:2], v[13:14]
	v_add_f64 v[102:103], v[1:2], v[9:10]
	;; [unrolled: 1-line block ×8, first 2 shown]
	v_fma_f64 v[56:57], v[43:44], s[8:9], -v[94:95]
	v_fma_f64 v[74:75], v[58:59], s[10:11], v[96:97]
	v_add_f64 v[19:20], v[1:2], v[19:20]
	v_add_f64 v[78:79], v[3:4], v[78:79]
	;; [unrolled: 1-line block ×8, first 2 shown]
	v_fma_f64 v[54:55], v[60:61], s[10:11], -v[98:99]
	v_fma_f64 v[56:57], v[66:67], s[26:27], v[100:101]
	v_add_f64 v[74:75], v[1:2], v[23:24]
	v_fma_f64 v[23:24], v[62:63], s[6:7], -v[80:81]
	v_add_f64 v[80:81], v[3:4], v[84:85]
	v_add_f64 v[84:85], v[1:2], v[25:26]
	v_mul_f64 v[25:26], v[31:32], s[20:21]
	v_add_f64 v[50:51], v[3:4], v[50:51]
	v_add_f64 v[52:53], v[3:4], v[52:53]
	;; [unrolled: 1-line block ×5, first 2 shown]
	v_fma_f64 v[13:14], v[64:65], s[6:7], v[86:87]
	v_fma_f64 v[23:24], v[41:42], s[8:9], -v[88:89]
	v_fma_f64 v[54:55], v[62:63], s[10:11], v[25:26]
	v_mul_f64 v[56:57], v[29:30], s[20:21]
	s_mov_b32 s39, 0x3fd207e7
	s_mov_b32 s38, s24
	v_mul_f64 v[86:87], v[39:40], s[38:39]
	s_mov_b32 s35, 0x3fefac9e
	v_add_f64 v[13:14], v[13:14], v[27:28]
	v_add_f64 v[11:12], v[23:24], v[11:12]
	v_fma_f64 v[23:24], v[43:44], s[8:9], v[94:95]
	v_fma_f64 v[27:28], v[58:59], s[10:11], -v[96:97]
	v_add_f64 v[15:16], v[54:55], v[15:16]
	v_fma_f64 v[54:55], v[64:65], s[10:11], -v[56:57]
	v_mul_f64 v[96:97], v[37:38], s[38:39]
	s_mov_b32 s34, s12
	v_mul_f64 v[9:10], v[48:49], s[24:25]
	v_fma_f64 v[94:95], v[41:42], s[26:27], v[86:87]
	v_mul_f64 v[104:105], v[35:36], s[34:35]
	v_add_f64 v[13:14], v[23:24], v[13:14]
	v_fma_f64 v[23:24], v[60:61], s[10:11], v[98:99]
	v_add_f64 v[54:55], v[54:55], v[76:77]
	v_fma_f64 v[76:77], v[43:44], s[26:27], -v[96:97]
	v_mul_f64 v[98:99], v[33:34], s[34:35]
	s_mov_b32 s31, 0x3fe14ced
	s_mov_b32 s30, s14
	v_add_f64 v[11:12], v[27:28], v[11:12]
	v_fma_f64 v[27:28], v[66:67], s[26:27], -v[100:101]
	v_add_f64 v[15:16], v[94:95], v[15:16]
	v_fma_f64 v[94:95], v[58:59], s[8:9], v[104:105]
	v_mul_f64 v[100:101], v[68:69], s[30:31]
	v_add_f64 v[13:14], v[23:24], v[13:14]
	v_fma_f64 v[23:24], v[46:47], s[26:27], v[9:10]
	v_add_f64 v[54:55], v[76:77], v[54:55]
	v_fma_f64 v[76:77], v[60:61], s[8:9], -v[98:99]
	v_fma_f64 v[88:89], v[46:47], s[26:27], -v[9:10]
	v_add_f64 v[9:10], v[27:28], v[11:12]
	v_add_f64 v[15:16], v[94:95], v[15:16]
	v_fma_f64 v[27:28], v[66:67], s[0:1], v[100:101]
	v_fma_f64 v[25:26], v[62:63], s[10:11], -v[25:26]
	v_fma_f64 v[56:57], v[64:65], s[10:11], v[56:57]
	v_add_f64 v[11:12], v[23:24], v[13:14]
	v_add_f64 v[23:24], v[76:77], v[54:55]
	v_mul_f64 v[54:55], v[31:32], s[38:39]
	s_mov_b32 s37, 0x3fed1bb4
	s_mov_b32 s36, s28
	v_mul_f64 v[76:77], v[29:30], s[38:39]
	v_add_f64 v[13:14], v[27:28], v[15:16]
	v_add_f64 v[17:18], v[25:26], v[17:18]
	;; [unrolled: 1-line block ×3, first 2 shown]
	v_fma_f64 v[27:28], v[41:42], s[26:27], -v[86:87]
	v_fma_f64 v[56:57], v[43:44], s[26:27], v[96:97]
	v_fma_f64 v[86:87], v[62:63], s[26:27], v[54:55]
	v_mul_f64 v[94:95], v[39:40], s[36:37]
	v_add_f64 v[3:4], v[88:89], v[3:4]
	v_mul_f64 v[88:89], v[48:49], s[30:31]
	v_fma_f64 v[90:91], v[64:65], s[26:27], -v[76:77]
	v_mul_f64 v[96:97], v[37:38], s[36:37]
	v_add_f64 v[17:18], v[27:28], v[17:18]
	v_add_f64 v[25:26], v[56:57], v[25:26]
	v_fma_f64 v[27:28], v[58:59], s[8:9], -v[104:105]
	v_fma_f64 v[56:57], v[60:61], s[8:9], v[98:99]
	v_add_f64 v[19:20], v[86:87], v[19:20]
	v_fma_f64 v[86:87], v[41:42], s[6:7], v[94:95]
	v_mul_f64 v[98:99], v[35:36], s[14:15]
	v_fma_f64 v[15:16], v[46:47], s[0:1], -v[88:89]
	v_add_f64 v[78:79], v[90:91], v[78:79]
	v_fma_f64 v[90:91], v[43:44], s[6:7], -v[96:97]
	v_mul_f64 v[104:105], v[33:34], s[14:15]
	v_add_f64 v[17:18], v[27:28], v[17:18]
	v_add_f64 v[25:26], v[56:57], v[25:26]
	v_fma_f64 v[27:28], v[66:67], s[0:1], -v[100:101]
	v_fma_f64 v[56:57], v[46:47], s[0:1], v[88:89]
	v_add_f64 v[86:87], v[86:87], v[19:20]
	v_fma_f64 v[88:89], v[58:59], s[0:1], v[98:99]
	v_mul_f64 v[100:101], v[68:69], s[20:21]
	v_add_f64 v[78:79], v[90:91], v[78:79]
	v_fma_f64 v[90:91], v[60:61], s[0:1], -v[104:105]
	v_add_f64 v[15:16], v[15:16], v[23:24]
	v_fma_f64 v[23:24], v[62:63], s[26:27], -v[54:55]
	v_add_f64 v[17:18], v[27:28], v[17:18]
	v_add_f64 v[19:20], v[56:57], v[25:26]
	v_fma_f64 v[25:26], v[64:65], s[26:27], v[76:77]
	v_add_f64 v[27:28], v[88:89], v[86:87]
	v_fma_f64 v[56:57], v[66:67], s[10:11], v[100:101]
	v_mul_f64 v[76:77], v[31:32], s[34:35]
	v_add_f64 v[54:55], v[90:91], v[78:79]
	v_add_f64 v[23:24], v[23:24], v[21:22]
	v_fma_f64 v[78:79], v[41:42], s[6:7], -v[94:95]
	v_mul_f64 v[88:89], v[29:30], s[34:35]
	v_add_f64 v[25:26], v[25:26], v[72:73]
	v_fma_f64 v[72:73], v[43:44], s[6:7], v[96:97]
	v_add_f64 v[21:22], v[56:57], v[27:28]
	v_fma_f64 v[27:28], v[62:63], s[8:9], v[76:77]
	v_mul_f64 v[56:57], v[39:40], s[14:15]
	v_mul_f64 v[86:87], v[48:49], s[20:21]
	v_add_f64 v[23:24], v[78:79], v[23:24]
	v_fma_f64 v[78:79], v[58:59], s[0:1], -v[98:99]
	v_mul_f64 v[94:95], v[37:38], s[14:15]
	v_add_f64 v[25:26], v[72:73], v[25:26]
	v_fma_f64 v[72:73], v[64:65], s[8:9], -v[88:89]
	v_add_f64 v[27:28], v[27:28], v[70:71]
	v_fma_f64 v[70:71], v[41:42], s[0:1], v[56:57]
	v_mul_f64 v[96:97], v[35:36], s[24:25]
	v_fma_f64 v[90:91], v[46:47], s[10:11], -v[86:87]
	v_add_f64 v[78:79], v[78:79], v[23:24]
	v_fma_f64 v[98:99], v[60:61], s[0:1], v[104:105]
	v_fma_f64 v[100:101], v[66:67], s[10:11], -v[100:101]
	v_add_f64 v[72:73], v[72:73], v[82:83]
	v_fma_f64 v[82:83], v[43:44], s[0:1], -v[94:95]
	v_mul_f64 v[104:105], v[33:34], s[24:25]
	v_add_f64 v[27:28], v[70:71], v[27:28]
	v_fma_f64 v[70:71], v[58:59], s[26:27], v[96:97]
	v_mul_f64 v[106:107], v[68:69], s[36:37]
	v_add_f64 v[23:24], v[90:91], v[54:55]
	v_add_f64 v[54:55], v[98:99], v[25:26]
	v_fma_f64 v[86:87], v[46:47], s[10:11], v[86:87]
	v_add_f64 v[72:73], v[82:83], v[72:73]
	v_fma_f64 v[82:83], v[60:61], s[26:27], -v[104:105]
	v_add_f64 v[25:26], v[100:101], v[78:79]
	v_add_f64 v[70:71], v[70:71], v[27:28]
	v_fma_f64 v[78:79], v[66:67], s[6:7], v[106:107]
	v_mul_f64 v[31:32], v[31:32], s[30:31]
	v_mul_f64 v[98:99], v[29:30], s[30:31]
	v_add_f64 v[27:28], v[86:87], v[54:55]
	v_mul_f64 v[39:40], v[39:40], s[20:21]
	v_add_f64 v[54:55], v[82:83], v[72:73]
	v_fma_f64 v[72:73], v[62:63], s[8:9], -v[76:77]
	v_fma_f64 v[76:77], v[64:65], s[8:9], v[88:89]
	v_add_f64 v[29:30], v[78:79], v[70:71]
	v_fma_f64 v[78:79], v[62:63], s[0:1], v[31:32]
	v_fma_f64 v[82:83], v[64:65], s[0:1], -v[98:99]
	v_fma_f64 v[31:32], v[62:63], s[0:1], -v[31:32]
	v_fma_f64 v[62:63], v[64:65], s[0:1], v[98:99]
	v_mul_f64 v[37:38], v[37:38], s[20:21]
	v_add_f64 v[64:65], v[72:73], v[102:103]
	v_add_f64 v[50:51], v[76:77], v[50:51]
	v_fma_f64 v[56:57], v[41:42], s[0:1], -v[56:57]
	v_add_f64 v[72:73], v[78:79], v[74:75]
	v_add_f64 v[74:75], v[82:83], v[80:81]
	v_fma_f64 v[76:77], v[43:44], s[0:1], v[94:95]
	v_add_f64 v[31:32], v[31:32], v[84:85]
	v_add_f64 v[52:53], v[62:63], v[52:53]
	v_fma_f64 v[62:63], v[41:42], s[10:11], v[39:40]
	v_fma_f64 v[78:79], v[43:44], s[10:11], -v[37:38]
	v_fma_f64 v[39:40], v[41:42], s[10:11], -v[39:40]
	v_fma_f64 v[37:38], v[43:44], s[10:11], v[37:38]
	v_mul_f64 v[35:36], v[35:36], s[36:37]
	v_mul_f64 v[33:34], v[33:34], s[36:37]
	v_mul_f64 v[90:91], v[48:49], s[36:37]
	v_add_f64 v[41:42], v[56:57], v[64:65]
	v_add_f64 v[43:44], v[76:77], v[50:51]
	;; [unrolled: 1-line block ×4, first 2 shown]
	v_fma_f64 v[62:63], v[58:59], s[26:27], -v[96:97]
	v_add_f64 v[31:32], v[39:40], v[31:32]
	v_add_f64 v[37:38], v[37:38], v[52:53]
	v_fma_f64 v[39:40], v[58:59], s[6:7], v[35:36]
	v_fma_f64 v[52:53], v[60:61], s[6:7], -v[33:34]
	v_fma_f64 v[35:36], v[58:59], s[6:7], -v[35:36]
	v_fma_f64 v[33:34], v[60:61], s[6:7], v[33:34]
	v_mul_f64 v[58:59], v[68:69], s[12:13]
	v_mul_f64 v[48:49], v[48:49], s[12:13]
	v_fma_f64 v[64:65], v[60:61], s[26:27], v[104:105]
	v_fma_f64 v[70:71], v[46:47], s[6:7], -v[90:91]
	v_add_f64 v[39:40], v[39:40], v[50:51]
	v_add_f64 v[50:51], v[52:53], v[56:57]
	;; [unrolled: 1-line block ×4, first 2 shown]
	v_fma_f64 v[37:38], v[66:67], s[8:9], v[58:59]
	v_fma_f64 v[60:61], v[46:47], s[8:9], -v[48:49]
	v_add_f64 v[52:53], v[35:36], v[31:32]
	v_fma_f64 v[33:34], v[66:67], s[6:7], -v[106:107]
	v_fma_f64 v[58:59], v[66:67], s[8:9], -v[58:59]
	v_fma_f64 v[48:49], v[46:47], s[8:9], v[48:49]
	v_add_f64 v[43:44], v[64:65], v[43:44]
	v_fma_f64 v[35:36], v[46:47], s[6:7], v[90:91]
	s_load_dwordx2 s[40:41], s[40:41], 0x0
	v_add_f64 v[31:32], v[70:71], v[54:55]
	v_add_f64 v[37:38], v[37:38], v[39:40]
	;; [unrolled: 1-line block ×3, first 2 shown]
	s_movk_i32 s5, 0x790
	v_add_f64 v[33:34], v[33:34], v[41:42]
	v_add_f64 v[46:47], v[58:59], v[52:53]
	;; [unrolled: 1-line block ×3, first 2 shown]
	v_mad_u32_u24 v41, v45, s5, 0
	v_add_f64 v[35:36], v[35:36], v[43:44]
	v_lshl_add_u32 v42, v114, 4, v41
	ds_write_b128 v42, v[5:8]
	ds_write_b128 v42, v[1:4] offset:176
	ds_write_b128 v42, v[13:16] offset:352
	;; [unrolled: 1-line block ×10, first 2 shown]
	s_waitcnt lgkmcnt(0)
	s_barrier
	s_and_saveexec_b64 s[46:47], s[44:45]
	s_cbranch_execz .LBB0_19
; %bb.18:
	s_mov_b32 s5, 0x1745d175
	v_mul_hi_u32 v1, v45, s5
	v_lshlrev_b32_e32 v43, 4, v114
	v_mul_lo_u32 v116, v93, -11
	s_add_i32 s5, 0, 0x5330
	v_mul_u32_u24_e32 v1, 11, v1
	v_sub_u32_e32 v115, v45, v1
	v_mul_u32_u24_e32 v1, 10, v115
	v_lshlrev_b32_e32 v42, 4, v1
	global_load_dwordx4 v[5:8], v42, s[42:43] offset:64
	global_load_dwordx4 v[1:4], v42, s[42:43] offset:80
	;; [unrolled: 1-line block ×8, first 2 shown]
	global_load_dwordx4 v[29:32], v42, s[42:43]
	global_load_dwordx4 v[33:36], v42, s[42:43] offset:144
	v_mul_i32_i24_e32 v42, 0xfffff920, v45
	v_add3_u32 v41, v41, v42, v43
	v_add_u32_e32 v42, 0x6e, v115
	v_mul_lo_u32 v85, v42, v93
	ds_read_b128 v[61:64], v41 offset:9680
	ds_read_b128 v[49:52], v41 offset:7744
	;; [unrolled: 1-line block ×10, first 2 shown]
	ds_read_b128 v[41:44], v41
	v_lshrrev_b32_e32 v87, 2, v85
	v_add_u32_e32 v88, v85, v116
	v_and_b32_e32 v87, 0x3f0, v87
	v_and_b32_e32 v86, 63, v85
	v_lshrrev_b32_e32 v85, 8, v85
	v_and_b32_e32 v89, 63, v88
	v_lshrrev_b32_e32 v90, 2, v88
	v_add_u32_e32 v87, s5, v87
	v_lshl_add_u32 v86, v86, 4, 0
	v_and_b32_e32 v85, 0x3f0, v85
	v_lshl_add_u32 v102, v89, 4, 0
	v_and_b32_e32 v89, 0x3f0, v90
	ds_read_b128 v[94:97], v87 offset:1024
	v_add_u32_e32 v85, s5, v85
	v_add_u32_e32 v87, s5, v89
	ds_read_b128 v[98:101], v86 offset:21296
	ds_read_b128 v[89:92], v85 offset:2048
	v_add_u32_e32 v137, v88, v116
	v_lshrrev_b32_e32 v88, 8, v88
	v_and_b32_e32 v112, 63, v137
	s_waitcnt lgkmcnt(1)
	v_mul_f64 v[106:107], v[100:101], v[96:97]
	v_mul_f64 v[96:97], v[98:99], v[96:97]
	v_and_b32_e32 v88, 0x3f0, v88
	v_lshrrev_b32_e32 v113, 2, v137
	v_add_u32_e32 v85, s5, v88
	v_lshl_add_u32 v138, v112, 4, 0
	v_and_b32_e32 v112, 0x3f0, v113
	ds_read_b128 v[102:105], v102 offset:21296
	ds_read_b128 v[108:111], v87 offset:1024
	ds_read_b128 v[85:88], v85 offset:2048
	v_fma_f64 v[98:99], v[98:99], v[94:95], -v[106:107]
	v_fma_f64 v[100:101], v[100:101], v[94:95], v[96:97]
	v_add_u32_e32 v139, s5, v112
	s_waitcnt lgkmcnt(1)
	v_mul_f64 v[112:113], v[104:105], v[110:111]
	v_mul_f64 v[110:111], v[102:103], v[110:111]
	;; [unrolled: 1-line block ×4, first 2 shown]
	s_waitcnt vmcnt(9)
	v_mul_f64 v[94:95], v[63:64], v[7:8]
	v_mul_f64 v[7:8], v[61:62], v[7:8]
	s_waitcnt vmcnt(8)
	v_mul_f64 v[106:107], v[67:68], v[3:4]
	v_mul_f64 v[3:4], v[65:66], v[3:4]
	s_waitcnt vmcnt(7)
	v_mul_f64 v[117:118], v[51:52], v[19:20]
	s_waitcnt vmcnt(4)
	v_mul_f64 v[123:124], v[75:76], v[15:16]
	s_waitcnt vmcnt(3)
	v_mul_f64 v[125:126], v[47:48], v[27:28]
	v_mul_f64 v[27:28], v[45:46], v[27:28]
	v_fma_f64 v[94:95], v[61:62], v[5:6], v[94:95]
	v_fma_f64 v[96:97], v[63:64], v[5:6], -v[7:8]
	v_fma_f64 v[61:62], v[65:66], v[1:2], v[106:107]
	v_fma_f64 v[63:64], v[67:68], v[1:2], -v[3:4]
	s_waitcnt vmcnt(0)
	v_mul_f64 v[1:2], v[77:78], v[35:36]
	v_mul_f64 v[15:16], v[73:74], v[15:16]
	;; [unrolled: 1-line block ×3, first 2 shown]
	v_fma_f64 v[47:48], v[47:48], v[25:26], -v[27:28]
	v_mul_f64 v[127:128], v[71:72], v[39:40]
	v_mul_f64 v[129:130], v[69:70], v[39:40]
	v_fma_f64 v[65:66], v[49:50], v[17:18], v[117:118]
	v_fma_f64 v[49:50], v[73:74], v[13:14], v[123:124]
	v_fma_f64 v[27:28], v[79:80], v[33:34], -v[1:2]
	v_lshrrev_b32_e32 v1, 8, v137
	v_and_b32_e32 v1, 0x3f0, v1
	v_add_u32_e32 v1, s5, v1
	v_fma_f64 v[39:40], v[75:76], v[13:14], -v[15:16]
	ds_read_b128 v[5:8], v138 offset:21296
	ds_read_b128 v[1:4], v1 offset:2048
	;; [unrolled: 1-line block ×3, first 2 shown]
	v_mul_f64 v[119:120], v[59:60], v[11:12]
	v_mul_f64 v[11:12], v[57:58], v[11:12]
	;; [unrolled: 1-line block ×5, first 2 shown]
	v_fma_f64 v[67:68], v[51:52], v[17:18], -v[19:20]
	s_waitcnt lgkmcnt(0)
	v_mul_f64 v[17:18], v[7:8], v[15:16]
	v_mul_f64 v[15:16], v[5:6], v[15:16]
	v_add_u32_e32 v19, v137, v116
	v_fma_f64 v[57:58], v[57:58], v[9:10], v[119:120]
	v_fma_f64 v[51:52], v[59:60], v[9:10], -v[11:12]
	v_fma_f64 v[53:54], v[53:54], v[21:22], v[121:122]
	v_fma_f64 v[55:56], v[55:56], v[21:22], -v[23:24]
	v_lshrrev_b32_e32 v9, 8, v19
	v_lshrrev_b32_e32 v21, 2, v19
	v_mul_f64 v[131:132], v[83:84], v[31:32]
	v_mul_f64 v[135:136], v[81:82], v[31:32]
	v_and_b32_e32 v9, 0x3f0, v9
	v_and_b32_e32 v20, 63, v19
	;; [unrolled: 1-line block ×3, first 2 shown]
	v_fma_f64 v[45:46], v[45:46], v[25:26], v[125:126]
	v_fma_f64 v[25:26], v[77:78], v[33:34], v[133:134]
	v_add_u32_e32 v9, s5, v9
	v_lshl_add_u32 v20, v20, 4, 0
	v_add_u32_e32 v33, s5, v21
	v_fma_f64 v[35:36], v[69:70], v[37:38], v[127:128]
	v_fma_f64 v[31:32], v[71:72], v[37:38], -v[129:130]
	ds_read_b128 v[9:12], v9 offset:2048
	ds_read_b128 v[21:24], v20 offset:21296
	;; [unrolled: 1-line block ×3, first 2 shown]
	v_fma_f64 v[33:34], v[5:6], v[13:14], -v[17:18]
	v_fma_f64 v[69:70], v[7:8], v[13:14], v[15:16]
	v_add_u32_e32 v13, v19, v116
	v_and_b32_e32 v5, 63, v13
	v_lshl_add_u32 v14, v5, 4, 0
	v_lshrrev_b32_e32 v5, 2, v13
	v_fma_f64 v[106:107], v[102:103], v[108:109], -v[112:113]
	v_fma_f64 v[133:134], v[104:105], v[108:109], v[110:111]
	v_and_b32_e32 v5, 0x3f0, v5
	v_add_u32_e32 v108, v13, v116
	v_add_u32_e32 v15, s5, v5
	v_and_b32_e32 v5, 63, v108
	v_lshrrev_b32_e32 v6, 2, v108
	v_lshrrev_b32_e32 v13, 8, v13
	v_lshl_add_u32 v5, v5, 4, 0
	v_and_b32_e32 v6, 0x3f0, v6
	v_and_b32_e32 v13, 0x3f0, v13
	v_fma_f64 v[37:38], v[81:82], v[29:30], v[131:132]
	v_fma_f64 v[29:30], v[83:84], v[29:30], -v[135:136]
	s_waitcnt lgkmcnt(0)
	v_mul_f64 v[59:60], v[23:24], v[73:74]
	v_mul_f64 v[102:103], v[21:22], v[73:74]
	v_add_u32_e32 v16, s5, v6
	ds_read_b128 v[5:8], v5 offset:21296
	ds_read_b128 v[73:76], v16 offset:1024
	v_add_u32_e32 v13, s5, v13
	ds_read_b128 v[77:80], v14 offset:21296
	ds_read_b128 v[17:20], v13 offset:2048
	ds_read_b128 v[81:84], v15 offset:1024
	v_lshrrev_b32_e32 v13, 8, v108
	v_and_b32_e32 v13, 0x3f0, v13
	v_fma_f64 v[135:136], v[21:22], v[71:72], -v[59:60]
	v_add_u32_e32 v21, v108, v116
	s_waitcnt lgkmcnt(0)
	v_mul_f64 v[104:105], v[79:80], v[83:84]
	v_add_u32_e32 v112, v21, v116
	v_fma_f64 v[137:138], v[23:24], v[71:72], v[102:103]
	v_lshrrev_b32_e32 v71, 2, v112
	v_and_b32_e32 v22, 63, v21
	v_lshrrev_b32_e32 v23, 2, v21
	v_and_b32_e32 v24, 63, v112
	v_and_b32_e32 v71, 0x3f0, v71
	v_lshrrev_b32_e32 v21, 8, v21
	v_add_u32_e32 v13, s5, v13
	v_lshl_add_u32 v22, v22, 4, 0
	v_and_b32_e32 v23, 0x3f0, v23
	v_lshl_add_u32 v24, v24, 4, 0
	v_add_u32_e32 v71, s5, v71
	v_and_b32_e32 v21, 0x3f0, v21
	ds_read_b128 v[13:16], v13 offset:2048
	v_mul_f64 v[83:84], v[77:78], v[83:84]
	v_mul_f64 v[59:60], v[7:8], v[75:76]
	v_add_u32_e32 v23, s5, v23
	ds_read_b128 v[117:120], v24 offset:21296
	ds_read_b128 v[121:124], v71 offset:1024
	v_mul_f64 v[71:72], v[5:6], v[75:76]
	v_fma_f64 v[139:140], v[77:78], v[81:82], -v[104:105]
	v_add_u32_e32 v21, s5, v21
	ds_read_b128 v[75:78], v22 offset:21296
	ds_read_b128 v[125:128], v21 offset:2048
	;; [unrolled: 1-line block ×3, first 2 shown]
	v_add_f64 v[143:144], v[37:38], -v[25:26]
	v_add_f64 v[153:154], v[29:30], -v[27:28]
	s_waitcnt lgkmcnt(3)
	v_mul_f64 v[110:111], v[119:120], v[123:124]
	v_fma_f64 v[141:142], v[79:80], v[81:82], v[83:84]
	s_waitcnt lgkmcnt(0)
	v_mul_f64 v[108:109], v[77:78], v[104:105]
	v_mul_f64 v[104:105], v[75:76], v[104:105]
	v_fma_f64 v[145:146], v[5:6], v[73:74], -v[59:60]
	v_fma_f64 v[147:148], v[7:8], v[73:74], v[71:72]
	v_mul_f64 v[73:74], v[143:144], s[14:15]
	v_add_f64 v[79:80], v[29:30], v[27:28]
	v_add_f64 v[157:158], v[45:46], -v[35:36]
	v_add_f64 v[159:160], v[47:48], -v[31:32]
	v_fma_f64 v[149:150], v[75:76], v[102:103], -v[108:109]
	v_fma_f64 v[151:152], v[77:78], v[102:103], v[104:105]
	v_add_f64 v[102:103], v[37:38], v[25:26]
	v_mul_f64 v[104:105], v[153:154], s[14:15]
	v_add_u32_e32 v129, v112, v116
	v_and_b32_e32 v5, 63, v129
	v_lshrrev_b32_e32 v21, 8, v112
	v_mul_f64 v[123:124], v[117:118], v[123:124]
	v_fma_f64 v[155:156], v[117:118], v[121:122], -v[110:111]
	v_lshl_add_u32 v117, v5, 4, 0
	v_fma_f64 v[5:6], v[79:80], s[0:1], v[73:74]
	v_mul_f64 v[108:109], v[157:158], s[28:29]
	v_add_f64 v[110:111], v[47:48], v[31:32]
	v_add_f64 v[161:162], v[53:54], -v[49:50]
	v_fma_f64 v[7:8], v[102:103], s[0:1], -v[104:105]
	v_add_f64 v[112:113], v[45:46], v[35:36]
	v_mul_f64 v[163:164], v[159:160], s[28:29]
	v_add_f64 v[165:166], v[55:56], -v[39:40]
	v_add_f64 v[5:6], v[43:44], v[5:6]
	v_add_f64 v[169:170], v[55:56], v[39:40]
	v_fma_f64 v[59:60], v[110:111], s[6:7], v[108:109]
	v_mul_f64 v[167:168], v[161:162], s[12:13]
	v_add_f64 v[171:172], v[65:66], -v[57:58]
	v_add_f64 v[7:8], v[41:42], v[7:8]
	v_fma_f64 v[71:72], v[112:113], s[6:7], -v[163:164]
	v_add_f64 v[77:78], v[53:54], v[49:50]
	v_mul_f64 v[83:84], v[165:166], s[12:13]
	v_add_f64 v[173:174], v[67:68], -v[51:52]
	v_lshrrev_b32_e32 v75, 2, v129
	v_and_b32_e32 v118, 0x3f0, v75
	v_add_f64 v[5:6], v[59:60], v[5:6]
	v_fma_f64 v[59:60], v[169:170], s[8:9], v[167:168]
	v_mul_f64 v[175:176], v[171:172], s[20:21]
	v_add_f64 v[177:178], v[67:68], v[51:52]
	v_add_f64 v[7:8], v[71:72], v[7:8]
	v_fma_f64 v[71:72], v[77:78], s[8:9], -v[83:84]
	v_add_f64 v[75:76], v[65:66], v[57:58]
	v_mul_f64 v[81:82], v[173:174], s[20:21]
	v_add_f64 v[179:180], v[96:97], -v[63:64]
	v_add_f64 v[181:182], v[94:95], -v[61:62]
	v_add_f64 v[185:186], v[59:60], v[5:6]
	v_fma_f64 v[187:188], v[177:178], s[10:11], v[175:176]
	v_add_f64 v[59:60], v[94:95], v[61:62]
	v_add_f64 v[189:190], v[71:72], v[7:8]
	v_lshrrev_b32_e32 v5, 8, v129
	v_fma_f64 v[191:192], v[75:76], s[10:11], -v[81:82]
	v_mul_f64 v[71:72], v[179:180], s[24:25]
	v_and_b32_e32 v21, 0x3f0, v21
	v_and_b32_e32 v5, 0x3f0, v5
	v_add_u32_e32 v21, s5, v21
	v_add_u32_e32 v130, s5, v118
	;; [unrolled: 1-line block ×3, first 2 shown]
	ds_read_b128 v[21:24], v21 offset:2048
	v_fma_f64 v[183:184], v[119:120], v[121:122], v[123:124]
	ds_read_b128 v[5:8], v117 offset:21296
	ds_read_b128 v[117:120], v118 offset:2048
	;; [unrolled: 1-line block ×3, first 2 shown]
	v_mul_f64 v[193:194], v[181:182], s[24:25]
	v_add_f64 v[195:196], v[96:97], v[63:64]
	v_add_f64 v[185:186], v[187:188], v[185:186]
	;; [unrolled: 1-line block ×3, first 2 shown]
	s_waitcnt lgkmcnt(0)
	v_mul_f64 v[197:198], v[7:8], v[123:124]
	v_fma_f64 v[189:190], v[59:60], s[26:27], -v[71:72]
	v_mul_f64 v[201:202], v[153:154], s[28:29]
	v_mul_f64 v[123:124], v[5:6], v[123:124]
	;; [unrolled: 1-line block ×3, first 2 shown]
	v_fma_f64 v[191:192], v[195:196], s[26:27], v[193:194]
	v_mul_f64 v[207:208], v[161:162], s[38:39]
	v_mul_f64 v[209:210], v[143:144], s[12:13]
	v_fma_f64 v[197:198], v[5:6], v[121:122], -v[197:198]
	v_fma_f64 v[5:6], v[89:90], v[100:101], v[199:200]
	v_add_f64 v[100:101], v[189:190], v[187:188]
	v_fma_f64 v[187:188], v[102:103], s[6:7], -v[201:202]
	v_mul_f64 v[189:190], v[159:160], s[20:21]
	v_fma_f64 v[121:122], v[7:8], v[121:122], v[123:124]
	v_fma_f64 v[7:8], v[79:80], s[6:7], v[203:204]
	v_mul_f64 v[123:124], v[157:158], s[20:21]
	v_add_f64 v[185:186], v[191:192], v[185:186]
	v_fma_f64 v[89:90], v[89:90], v[98:99], -v[91:92]
	v_mul_f64 v[91:92], v[100:101], v[5:6]
	v_add_f64 v[98:99], v[41:42], v[187:188]
	v_fma_f64 v[187:188], v[112:113], s[10:11], -v[189:190]
	v_mul_f64 v[191:192], v[165:166], s[38:39]
	v_add_f64 v[199:200], v[43:44], v[7:8]
	v_fma_f64 v[205:206], v[110:111], s[10:11], v[123:124]
	v_mul_f64 v[5:6], v[185:186], v[5:6]
	v_mul_f64 v[211:212], v[153:154], s[12:13]
	v_fma_f64 v[7:8], v[185:186], v[89:90], -v[91:92]
	v_mul_f64 v[91:92], v[106:107], v[87:88]
	v_add_f64 v[98:99], v[187:188], v[98:99]
	v_fma_f64 v[185:186], v[77:78], s[26:27], -v[191:192]
	v_mul_f64 v[187:188], v[173:174], s[34:35]
	v_add_f64 v[199:200], v[205:206], v[199:200]
	v_fma_f64 v[205:206], v[169:170], s[26:27], v[207:208]
	v_mul_f64 v[87:88], v[133:134], v[87:88]
	v_mul_f64 v[213:214], v[179:180], s[30:31]
	v_fma_f64 v[91:92], v[85:86], v[133:134], v[91:92]
	v_mul_f64 v[133:134], v[171:172], s[34:35]
	v_add_f64 v[98:99], v[185:186], v[98:99]
	v_fma_f64 v[185:186], v[75:76], s[8:9], -v[187:188]
	v_mul_f64 v[215:216], v[157:158], s[38:39]
	v_add_f64 v[199:200], v[205:206], v[199:200]
	v_fma_f64 v[205:206], v[79:80], s[8:9], v[209:210]
	v_fma_f64 v[219:220], v[102:103], s[8:9], -v[211:212]
	v_mul_f64 v[221:222], v[159:160], s[38:39]
	v_fma_f64 v[217:218], v[177:178], s[8:9], v[133:134]
	v_mul_f64 v[223:224], v[181:182], s[30:31]
	v_add_f64 v[98:99], v[185:186], v[98:99]
	v_fma_f64 v[185:186], v[59:60], s[0:1], -v[213:214]
	v_fma_f64 v[225:226], v[110:111], s[26:27], v[215:216]
	v_add_f64 v[205:206], v[43:44], v[205:206]
	v_mul_f64 v[227:228], v[161:162], s[36:37]
	v_add_f64 v[219:220], v[41:42], v[219:220]
	v_fma_f64 v[229:230], v[112:113], s[26:27], -v[221:222]
	v_mul_f64 v[231:232], v[165:166], s[36:37]
	v_add_f64 v[199:200], v[217:218], v[199:200]
	v_add_f64 v[98:99], v[185:186], v[98:99]
	v_fma_f64 v[185:186], v[195:196], s[0:1], v[223:224]
	v_add_f64 v[205:206], v[225:226], v[205:206]
	v_fma_f64 v[217:218], v[169:170], s[6:7], v[227:228]
	v_mul_f64 v[225:226], v[171:172], s[14:15]
	v_add_f64 v[219:220], v[229:230], v[219:220]
	v_fma_f64 v[229:230], v[77:78], s[6:7], -v[231:232]
	v_mul_f64 v[233:234], v[173:174], s[14:15]
	v_fma_f64 v[5:6], v[100:101], v[89:90], v[5:6]
	v_fma_f64 v[85:86], v[85:86], v[106:107], -v[87:88]
	v_add_f64 v[87:88], v[185:186], v[199:200]
	v_add_f64 v[100:101], v[217:218], v[205:206]
	v_fma_f64 v[106:107], v[177:178], s[0:1], v[225:226]
	v_mul_f64 v[205:206], v[179:180], s[20:21]
	v_add_f64 v[185:186], v[229:230], v[219:220]
	v_fma_f64 v[199:200], v[75:76], s[0:1], -v[233:234]
	v_mul_f64 v[217:218], v[181:182], s[20:21]
	v_mul_f64 v[219:220], v[143:144], s[20:21]
	;; [unrolled: 1-line block ×4, first 2 shown]
	v_add_f64 v[100:101], v[106:107], v[100:101]
	v_mul_f64 v[239:240], v[157:158], s[34:35]
	v_mul_f64 v[243:244], v[159:160], s[34:35]
	v_add_f64 v[106:107], v[199:200], v[185:186]
	v_fma_f64 v[185:186], v[59:60], s[10:11], -v[205:206]
	v_fma_f64 v[199:200], v[195:196], s[10:11], v[217:218]
	v_fma_f64 v[237:238], v[79:80], s[10:11], v[219:220]
	v_fma_f64 v[241:242], v[102:103], s[10:11], -v[235:236]
	v_mul_f64 v[3:4], v[69:70], v[3:4]
	v_fma_f64 v[69:70], v[1:2], v[69:70], v[229:230]
	v_mul_f64 v[229:230], v[161:162], s[14:15]
	v_mul_f64 v[245:246], v[165:166], s[14:15]
	v_add_f64 v[106:107], v[185:186], v[106:107]
	v_add_f64 v[100:101], v[199:200], v[100:101]
	;; [unrolled: 1-line block ×3, first 2 shown]
	v_fma_f64 v[199:200], v[110:111], s[8:9], v[239:240]
	v_add_f64 v[237:238], v[41:42], v[241:242]
	v_fma_f64 v[241:242], v[112:113], s[8:9], -v[243:244]
	v_mul_f64 v[89:90], v[98:99], v[91:92]
	v_mul_f64 v[91:92], v[87:88], v[91:92]
	v_fma_f64 v[33:34], v[1:2], v[33:34], -v[3:4]
	v_mul_f64 v[247:248], v[106:107], v[69:70]
	v_mul_f64 v[69:70], v[100:101], v[69:70]
	v_add_f64 v[185:186], v[199:200], v[185:186]
	v_fma_f64 v[199:200], v[169:170], s[0:1], v[229:230]
	v_mul_f64 v[249:250], v[171:172], s[24:25]
	v_add_f64 v[237:238], v[241:242], v[237:238]
	v_fma_f64 v[241:242], v[77:78], s[0:1], -v[245:246]
	v_mul_f64 v[251:252], v[173:174], s[24:25]
	v_fma_f64 v[3:4], v[87:88], v[85:86], -v[89:90]
	v_fma_f64 v[1:2], v[98:99], v[85:86], v[91:92]
	v_fma_f64 v[87:88], v[100:101], v[33:34], -v[247:248]
	v_fma_f64 v[85:86], v[106:107], v[33:34], v[69:70]
	v_add_f64 v[33:34], v[199:200], v[185:186]
	v_fma_f64 v[69:70], v[177:178], s[26:27], v[249:250]
	v_add_f64 v[89:90], v[241:242], v[237:238]
	v_fma_f64 v[91:92], v[75:76], s[26:27], -v[251:252]
	v_mul_f64 v[98:99], v[179:180], s[36:37]
	v_mul_f64 v[100:101], v[181:182], s[36:37]
	;; [unrolled: 1-line block ×6, first 2 shown]
	v_add_f64 v[33:34], v[69:70], v[33:34]
	v_add_f64 v[69:70], v[91:92], v[89:90]
	v_fma_f64 v[89:90], v[59:60], s[6:7], -v[98:99]
	v_fma_f64 v[91:92], v[195:196], s[6:7], v[100:101]
	v_fma_f64 v[185:186], v[79:80], s[26:27], v[106:107]
	v_mul_f64 v[157:158], v[157:158], s[30:31]
	v_fma_f64 v[135:136], v[9:10], v[135:136], -v[143:144]
	v_fma_f64 v[143:144], v[102:103], s[26:27], -v[153:154]
	v_mul_f64 v[159:160], v[159:160], s[30:31]
	v_fma_f64 v[9:10], v[9:10], v[137:138], v[11:12]
	v_add_f64 v[69:70], v[89:90], v[69:70]
	v_add_f64 v[11:12], v[91:92], v[33:34]
	;; [unrolled: 1-line block ×3, first 2 shown]
	v_fma_f64 v[89:90], v[110:111], s[0:1], v[157:158]
	v_mul_f64 v[91:92], v[161:162], s[20:21]
	v_add_f64 v[137:138], v[41:42], v[143:144]
	v_fma_f64 v[143:144], v[112:113], s[0:1], -v[159:160]
	v_mul_f64 v[161:162], v[165:166], s[20:21]
	v_mul_f64 v[165:166], v[69:70], v[9:10]
	;; [unrolled: 1-line block ×4, first 2 shown]
	v_add_f64 v[33:34], v[89:90], v[33:34]
	v_fma_f64 v[89:90], v[169:170], s[10:11], v[91:92]
	v_mul_f64 v[185:186], v[141:142], v[19:20]
	v_add_f64 v[137:138], v[143:144], v[137:138]
	v_fma_f64 v[143:144], v[77:78], s[10:11], -v[161:162]
	v_fma_f64 v[11:12], v[11:12], v[135:136], -v[165:166]
	v_mul_f64 v[165:166], v[173:174], s[36:37]
	v_fma_f64 v[9:10], v[69:70], v[135:136], v[9:10]
	v_mul_f64 v[19:20], v[139:140], v[19:20]
	v_add_f64 v[33:34], v[89:90], v[33:34]
	v_fma_f64 v[69:70], v[177:178], s[6:7], v[171:172]
	v_fma_f64 v[106:107], v[79:80], s[26:27], -v[106:107]
	v_fma_f64 v[89:90], v[17:18], v[139:140], -v[185:186]
	v_add_f64 v[135:136], v[143:144], v[137:138]
	v_fma_f64 v[137:138], v[75:76], s[6:7], -v[165:166]
	v_mul_f64 v[139:140], v[179:180], s[12:13]
	v_fma_f64 v[17:18], v[17:18], v[141:142], v[19:20]
	v_fma_f64 v[141:142], v[102:103], s[26:27], v[153:154]
	v_add_f64 v[33:34], v[69:70], v[33:34]
	v_fma_f64 v[69:70], v[110:111], s[0:1], -v[157:158]
	v_add_f64 v[106:107], v[43:44], v[106:107]
	v_fma_f64 v[143:144], v[102:103], s[10:11], v[235:236]
	v_mul_f64 v[19:20], v[181:182], s[12:13]
	v_fma_f64 v[157:158], v[79:80], s[10:11], -v[219:220]
	v_add_f64 v[135:136], v[137:138], v[135:136]
	v_fma_f64 v[137:138], v[59:60], s[8:9], -v[139:140]
	v_fma_f64 v[159:160], v[112:113], s[0:1], v[159:160]
	v_add_f64 v[141:142], v[41:42], v[141:142]
	v_add_f64 v[69:70], v[69:70], v[106:107]
	v_fma_f64 v[91:92], v[169:170], s[10:11], -v[91:92]
	v_fma_f64 v[106:107], v[112:113], s[8:9], v[243:244]
	v_add_f64 v[143:144], v[41:42], v[143:144]
	v_fma_f64 v[153:154], v[195:196], s[8:9], v[19:20]
	v_fma_f64 v[173:174], v[110:111], s[8:9], -v[239:240]
	v_add_f64 v[157:158], v[43:44], v[157:158]
	v_add_f64 v[135:136], v[137:138], v[135:136]
	;; [unrolled: 1-line block ×3, first 2 shown]
	v_fma_f64 v[141:142], v[77:78], s[10:11], v[161:162]
	v_add_f64 v[69:70], v[91:92], v[69:70]
	v_add_f64 v[91:92], v[106:107], v[143:144]
	v_fma_f64 v[106:107], v[77:78], s[0:1], v[245:246]
	v_add_f64 v[33:34], v[153:154], v[33:34]
	v_add_f64 v[143:144], v[173:174], v[157:158]
	v_fma_f64 v[153:154], v[169:170], s[0:1], -v[229:230]
	v_fma_f64 v[157:158], v[177:178], s[6:7], -v[171:172]
	v_add_f64 v[137:138], v[141:142], v[137:138]
	v_fma_f64 v[141:142], v[75:76], s[6:7], v[165:166]
	v_fma_f64 v[19:20], v[195:196], s[8:9], -v[19:20]
	v_add_f64 v[91:92], v[106:107], v[91:92]
	v_fma_f64 v[106:107], v[75:76], s[26:27], v[251:252]
	v_fma_f64 v[98:99], v[59:60], s[6:7], v[98:99]
	v_add_f64 v[143:144], v[153:154], v[143:144]
	v_fma_f64 v[153:154], v[177:178], s[26:27], -v[249:250]
	v_add_f64 v[69:70], v[157:158], v[69:70]
	v_add_f64 v[137:138], v[141:142], v[137:138]
	v_mul_f64 v[141:142], v[149:150], v[127:128]
	v_mul_f64 v[159:160], v[147:148], v[15:16]
	v_add_f64 v[91:92], v[106:107], v[91:92]
	v_mul_f64 v[15:16], v[145:146], v[15:16]
	v_fma_f64 v[139:140], v[59:60], s[8:9], v[139:140]
	v_add_f64 v[106:107], v[153:154], v[143:144]
	v_fma_f64 v[100:101], v[195:196], s[6:7], -v[100:101]
	v_add_f64 v[19:20], v[19:20], v[69:70]
	v_mul_f64 v[69:70], v[151:152], v[127:128]
	v_fma_f64 v[127:128], v[125:126], v[151:152], v[141:142]
	v_add_f64 v[98:99], v[98:99], v[91:92]
	v_fma_f64 v[15:16], v[13:14], v[147:148], v[15:16]
	v_add_f64 v[137:138], v[139:140], v[137:138]
	v_mul_f64 v[91:92], v[135:136], v[17:18]
	v_add_f64 v[100:101], v[100:101], v[106:107]
	v_mul_f64 v[17:18], v[33:34], v[17:18]
	v_fma_f64 v[69:70], v[125:126], v[149:150], -v[69:70]
	v_fma_f64 v[106:107], v[13:14], v[145:146], -v[159:160]
	v_mul_f64 v[125:126], v[98:99], v[127:128]
	v_mul_f64 v[141:142], v[19:20], v[15:16]
	;; [unrolled: 1-line block ×3, first 2 shown]
	v_fma_f64 v[15:16], v[33:34], v[89:90], -v[91:92]
	v_mul_f64 v[33:34], v[100:101], v[127:128]
	v_mul_f64 v[127:128], v[183:184], v[23:24]
	v_fma_f64 v[13:14], v[135:136], v[89:90], v[17:18]
	v_fma_f64 v[123:124], v[110:111], s[10:11], -v[123:124]
	v_fma_f64 v[91:92], v[100:101], v[69:70], -v[125:126]
	v_fma_f64 v[100:101], v[102:103], s[8:9], v[211:212]
	v_fma_f64 v[19:20], v[19:20], v[106:107], -v[139:140]
	v_fma_f64 v[17:18], v[137:138], v[106:107], v[141:142]
	;; [unrolled: 2-line block ×5, first 2 shown]
	v_add_f64 v[100:101], v[41:42], v[100:101]
	v_fma_f64 v[125:126], v[110:111], s[26:27], -v[215:216]
	v_add_f64 v[106:107], v[43:44], v[106:107]
	v_fma_f64 v[135:136], v[112:113], s[10:11], v[189:190]
	v_add_f64 v[33:34], v[43:44], v[33:34]
	v_add_f64 v[69:70], v[41:42], v[69:70]
	;; [unrolled: 1-line block ×5, first 2 shown]
	v_fma_f64 v[127:128], v[77:78], s[6:7], v[231:232]
	v_add_f64 v[106:107], v[125:126], v[106:107]
	v_fma_f64 v[125:126], v[169:170], s[6:7], -v[227:228]
	v_add_f64 v[33:34], v[123:124], v[33:34]
	v_fma_f64 v[123:124], v[169:170], s[26:27], -v[207:208]
	v_add_f64 v[69:70], v[135:136], v[69:70]
	v_fma_f64 v[135:136], v[77:78], s[26:27], v[191:192]
	v_mul_f64 v[23:24], v[155:156], v[23:24]
	v_add_f64 v[100:101], v[127:128], v[100:101]
	v_fma_f64 v[127:128], v[75:76], s[0:1], v[233:234]
	v_add_f64 v[106:107], v[125:126], v[106:107]
	v_fma_f64 v[125:126], v[177:178], s[0:1], -v[225:226]
	v_add_f64 v[33:34], v[123:124], v[33:34]
	v_fma_f64 v[123:124], v[177:178], s[8:9], -v[133:134]
	v_add_f64 v[69:70], v[135:136], v[69:70]
	v_fma_f64 v[133:134], v[75:76], s[8:9], v[187:188]
	v_add_f64 v[37:38], v[37:38], v[45:46]
	v_add_f64 v[100:101], v[127:128], v[100:101]
	v_fma_f64 v[127:128], v[59:60], s[10:11], v[205:206]
	v_add_f64 v[106:107], v[125:126], v[106:107]
	v_fma_f64 v[125:126], v[195:196], s[10:11], -v[217:218]
	v_add_f64 v[29:30], v[29:30], v[47:48]
	v_fma_f64 v[21:22], v[21:22], v[183:184], v[23:24]
	v_add_f64 v[69:70], v[133:134], v[69:70]
	v_fma_f64 v[133:134], v[59:60], s[0:1], v[213:214]
	v_add_f64 v[37:38], v[37:38], v[53:54]
	v_add_f64 v[100:101], v[127:128], v[100:101]
	v_fma_f64 v[47:48], v[79:80], s[0:1], -v[73:74]
	v_add_f64 v[23:24], v[125:126], v[106:107]
	v_add_f64 v[29:30], v[29:30], v[55:56]
	v_fma_f64 v[55:56], v[112:113], s[6:7], v[163:164]
	v_add_u32_e32 v253, v129, v116
	v_add_f64 v[106:107], v[133:134], v[69:70]
	v_fma_f64 v[69:70], v[102:103], s[0:1], v[104:105]
	v_mul_f64 v[45:46], v[100:101], v[21:22]
	v_add_f64 v[37:38], v[37:38], v[65:66]
	v_lshrrev_b32_e32 v116, 8, v253
	v_add_f64 v[29:30], v[29:30], v[67:68]
	v_fma_f64 v[79:80], v[110:111], s[6:7], -v[108:109]
	v_add_f64 v[102:103], v[43:44], v[47:48]
	v_and_b32_e32 v116, 0x3f0, v116
	v_add_f64 v[69:70], v[41:42], v[69:70]
	v_lshrrev_b32_e32 v42, 2, v253
	v_and_b32_e32 v41, 63, v253
	v_and_b32_e32 v42, 0x3f0, v42
	v_add_u32_e32 v116, s5, v116
	v_mul_f64 v[21:22], v[23:24], v[21:22]
	v_fma_f64 v[23:24], v[23:24], v[98:99], -v[45:46]
	v_lshl_add_u32 v41, v41, 4, 0
	v_add_u32_e32 v45, s5, v42
	ds_read_b128 v[129:132], v116 offset:2048
	v_fma_f64 v[53:54], v[77:78], s[8:9], v[83:84]
	ds_read_b128 v[41:44], v41 offset:21296
	ds_read_b128 v[45:48], v45 offset:1024
	v_add_f64 v[55:56], v[55:56], v[69:70]
	v_add_f64 v[37:38], v[37:38], v[94:95]
	;; [unrolled: 1-line block ×3, first 2 shown]
	v_mul_lo_u32 v67, v115, v93
	v_mul_f64 v[137:138], v[121:122], v[119:120]
	v_mul_f64 v[119:120], v[197:198], v[119:120]
	v_fma_f64 v[73:74], v[169:170], s[8:9], -v[167:168]
	v_add_f64 v[79:80], v[79:80], v[102:103]
	s_waitcnt lgkmcnt(0)
	v_mul_f64 v[83:84], v[43:44], v[47:48]
	v_mul_f64 v[47:48], v[41:42], v[47:48]
	v_fma_f64 v[75:76], v[75:76], s[10:11], v[81:82]
	v_add_f64 v[81:82], v[53:54], v[55:56]
	v_lshrrev_b32_e32 v53, 8, v67
	v_add_f64 v[37:38], v[37:38], v[61:62]
	v_lshrrev_b32_e32 v61, 2, v67
	v_add_f64 v[29:30], v[29:30], v[63:64]
	v_and_b32_e32 v53, 0x3f0, v53
	v_and_b32_e32 v54, 63, v67
	;; [unrolled: 1-line block ×3, first 2 shown]
	v_add_u32_e32 v53, s5, v53
	v_lshl_add_u32 v63, v54, 4, 0
	v_add_u32_e32 v61, s5, v61
	ds_read_b128 v[53:56], v53 offset:2048
	ds_read_b128 v[63:66], v63 offset:21296
	;; [unrolled: 1-line block ×3, first 2 shown]
	v_fma_f64 v[135:136], v[117:118], v[197:198], -v[137:138]
	v_fma_f64 v[116:117], v[117:118], v[121:122], v[119:120]
	v_fma_f64 v[120:121], v[177:178], s[10:11], -v[175:176]
	v_fma_f64 v[41:42], v[41:42], v[45:46], -v[83:84]
	v_add_f64 v[61:62], v[73:74], v[79:80]
	v_fma_f64 v[43:44], v[43:44], v[45:46], v[47:48]
	v_add_f64 v[37:38], v[37:38], v[57:58]
	s_waitcnt lgkmcnt(0)
	v_mul_f64 v[45:46], v[65:66], v[69:70]
	v_add_f64 v[29:30], v[29:30], v[51:52]
	v_fma_f64 v[118:119], v[195:196], s[26:27], -v[193:194]
	v_fma_f64 v[47:48], v[59:60], s[26:27], v[71:72]
	v_add_f64 v[51:52], v[75:76], v[81:82]
	v_mul_f64 v[57:58], v[41:42], v[131:132]
	v_add_f64 v[59:60], v[120:121], v[61:62]
	v_add_f64 v[33:34], v[123:124], v[33:34]
	v_fma_f64 v[123:124], v[195:196], s[0:1], -v[223:224]
	v_mul_f64 v[61:62], v[63:64], v[69:70]
	v_add_f64 v[37:38], v[37:38], v[49:50]
	v_fma_f64 v[45:46], v[63:64], v[67:68], -v[45:46]
	v_add_f64 v[29:30], v[29:30], v[39:40]
	v_mul_f64 v[39:40], v[43:44], v[131:132]
	v_add_f64 v[47:48], v[47:48], v[51:52]
	v_fma_f64 v[43:44], v[129:130], v[43:44], v[57:58]
	v_add_f64 v[49:50], v[118:119], v[59:60]
	v_add_f64 v[33:34], v[123:124], v[33:34]
	v_fma_f64 v[51:52], v[65:66], v[67:68], v[61:62]
	v_add_f64 v[35:36], v[37:38], v[35:36]
	v_mul_f64 v[37:38], v[45:46], v[55:56]
	v_add_f64 v[29:30], v[29:30], v[31:32]
	v_fma_f64 v[39:40], v[129:130], v[41:42], -v[39:40]
	v_mul_f64 v[41:42], v[47:48], v[43:44]
	v_mul_f64 v[43:44], v[49:50], v[43:44]
	;; [unrolled: 1-line block ×5, first 2 shown]
	v_add_f64 v[57:58], v[35:36], v[25:26]
	v_fma_f64 v[35:36], v[53:54], v[51:52], v[37:38]
	s_mul_i32 s0, s41, s4
	s_mul_hi_u32 s1, s40, s4
	v_add_f64 v[37:38], v[29:30], v[27:28]
	s_add_i32 s1, s1, s0
	s_mul_i32 s0, s40, s4
	s_mov_b32 s4, 0x21d9eae
	v_mul_hi_u32 v0, v0, s4
	v_fma_f64 v[29:30], v[47:48], v[39:40], v[43:44]
	v_mad_u64_u32 v[43:44], s[4:5], s18, v114, 0
	s_movk_i32 s4, 0x79
	v_fma_f64 v[25:26], v[106:107], v[135:136], v[31:32]
	v_fma_f64 v[31:32], v[49:50], v[39:40], -v[41:42]
	v_mad_u32_u24 v50, v0, s4, v115
	v_fma_f64 v[27:28], v[33:34], v[135:136], -v[77:78]
	v_fma_f64 v[33:34], v[53:54], v[45:46], -v[55:56]
	v_mul_f64 v[39:40], v[57:58], v[35:36]
	v_mad_u64_u32 v[45:46], s[4:5], s16, v50, 0
	v_mul_f64 v[41:42], v[37:38], v[35:36]
	v_mov_b32_e32 v0, v44
	v_mad_u64_u32 v[47:48], s[4:5], s19, v114, v[0:1]
	v_mov_b32_e32 v0, v46
	v_mad_u64_u32 v[48:49], s[4:5], s17, v50, v[0:1]
	s_lshl_b64 s[0:1], s[0:1], 4
	s_add_u32 s4, s22, s0
	v_mov_b32_e32 v44, v47
	s_addc_u32 s5, s23, s1
	s_lshl_b64 s[0:1], s[2:3], 4
	v_fma_f64 v[35:36], v[37:38], v[33:34], -v[39:40]
	s_add_u32 s0, s4, s0
	v_lshlrev_b64 v[37:38], 4, v[43:44]
	v_fma_f64 v[33:34], v[57:58], v[33:34], v[41:42]
	s_addc_u32 s1, s5, s1
	v_add_u32_e32 v41, 11, v50
	v_mov_b32_e32 v0, s1
	v_add_co_u32_e32 v43, vcc, s0, v37
	v_mad_u64_u32 v[39:40], s[0:1], s16, v41, 0
	v_mov_b32_e32 v46, v48
	v_addc_co_u32_e32 v44, vcc, v0, v38, vcc
	v_mov_b32_e32 v0, v40
	v_lshlrev_b64 v[37:38], 4, v[45:46]
	v_mad_u64_u32 v[40:41], s[0:1], s17, v41, v[0:1]
	v_add_co_u32_e32 v37, vcc, v43, v37
	v_addc_co_u32_e32 v38, vcc, v44, v38, vcc
	v_add_u32_e32 v45, 22, v50
	v_mad_u64_u32 v[41:42], s[0:1], s16, v45, 0
	global_store_dwordx4 v[37:38], v[33:36], off
	v_fma_f64 v[21:22], v[100:101], v[98:99], v[21:22]
	v_lshlrev_b64 v[33:34], 4, v[39:40]
	v_mov_b32_e32 v0, v42
	v_add_co_u32_e32 v33, vcc, v43, v33
	v_addc_co_u32_e32 v34, vcc, v44, v34, vcc
	global_store_dwordx4 v[33:34], v[29:32], off
	v_add_u32_e32 v33, 33, v50
	v_mad_u64_u32 v[35:36], s[0:1], s17, v45, v[0:1]
	v_mad_u64_u32 v[31:32], s[0:1], s16, v33, 0
	v_mov_b32_e32 v42, v35
	v_lshlrev_b64 v[29:30], 4, v[41:42]
	v_mov_b32_e32 v0, v32
	v_mad_u64_u32 v[32:33], s[0:1], s17, v33, v[0:1]
	v_add_co_u32_e32 v29, vcc, v43, v29
	v_addc_co_u32_e32 v30, vcc, v44, v30, vcc
	v_add_u32_e32 v35, 44, v50
	v_mad_u64_u32 v[33:34], s[0:1], s16, v35, 0
	global_store_dwordx4 v[29:30], v[25:28], off
	v_mov_b32_e32 v0, v34
	v_lshlrev_b64 v[25:26], 4, v[31:32]
	v_mad_u64_u32 v[27:28], s[0:1], s17, v35, v[0:1]
	v_add_co_u32_e32 v25, vcc, v43, v25
	v_addc_co_u32_e32 v26, vcc, v44, v26, vcc
	global_store_dwordx4 v[25:26], v[21:24], off
	v_add_u32_e32 v25, 55, v50
	v_mad_u64_u32 v[23:24], s[0:1], s16, v25, 0
	v_mov_b32_e32 v34, v27
	v_lshlrev_b64 v[21:22], 4, v[33:34]
	v_mov_b32_e32 v0, v24
	v_mad_u64_u32 v[24:25], s[0:1], s17, v25, v[0:1]
	v_add_co_u32_e32 v21, vcc, v43, v21
	v_addc_co_u32_e32 v22, vcc, v44, v22, vcc
	v_add_u32_e32 v27, 0x42, v50
	v_mad_u64_u32 v[25:26], s[0:1], s16, v27, 0
	global_store_dwordx4 v[21:22], v[89:92], off
	v_lshlrev_b64 v[21:22], 4, v[23:24]
	v_mov_b32_e32 v0, v26
	v_add_co_u32_e32 v21, vcc, v43, v21
	v_addc_co_u32_e32 v22, vcc, v44, v22, vcc
	global_store_dwordx4 v[21:22], v[17:20], off
	v_add_u32_e32 v21, 0x4d, v50
	v_mad_u64_u32 v[23:24], s[0:1], s17, v27, v[0:1]
	v_mad_u64_u32 v[19:20], s[0:1], s16, v21, 0
	v_mov_b32_e32 v26, v23
	v_lshlrev_b64 v[17:18], 4, v[25:26]
	v_mov_b32_e32 v0, v20
	v_mad_u64_u32 v[20:21], s[0:1], s17, v21, v[0:1]
	v_add_co_u32_e32 v17, vcc, v43, v17
	v_addc_co_u32_e32 v18, vcc, v44, v18, vcc
	v_add_u32_e32 v23, 0x58, v50
	global_store_dwordx4 v[17:18], v[13:16], off
	v_mad_u64_u32 v[21:22], s[0:1], s16, v23, 0
	v_lshlrev_b64 v[13:14], 4, v[19:20]
	v_add_co_u32_e32 v13, vcc, v43, v13
	v_addc_co_u32_e32 v14, vcc, v44, v14, vcc
	global_store_dwordx4 v[13:14], v[9:12], off
	v_add_u32_e32 v13, 0x63, v50
	v_mov_b32_e32 v0, v22
	v_mad_u64_u32 v[11:12], s[0:1], s16, v13, 0
	v_mad_u64_u32 v[15:16], s[0:1], s17, v23, v[0:1]
	v_mov_b32_e32 v0, v12
	v_mad_u64_u32 v[12:13], s[0:1], s17, v13, v[0:1]
	v_mov_b32_e32 v22, v15
	v_add_u32_e32 v15, 0x6e, v50
	v_mad_u64_u32 v[13:14], s[0:1], s16, v15, 0
	v_lshlrev_b64 v[9:10], 4, v[21:22]
	v_add_co_u32_e32 v9, vcc, v43, v9
	v_addc_co_u32_e32 v10, vcc, v44, v10, vcc
	v_mov_b32_e32 v0, v14
	global_store_dwordx4 v[9:10], v[85:88], off
	v_lshlrev_b64 v[9:10], 4, v[11:12]
	v_mad_u64_u32 v[11:12], s[0:1], s17, v15, v[0:1]
	v_add_co_u32_e32 v9, vcc, v43, v9
	v_addc_co_u32_e32 v10, vcc, v44, v10, vcc
	v_mov_b32_e32 v14, v11
	global_store_dwordx4 v[9:10], v[1:4], off
	s_nop 0
	v_lshlrev_b64 v[0:1], 4, v[13:14]
	v_add_co_u32_e32 v0, vcc, v43, v0
	v_addc_co_u32_e32 v1, vcc, v44, v1, vcc
	global_store_dwordx4 v[0:1], v[5:8], off
.LBB0_19:
	s_endpgm
	.section	.rodata,"a",@progbits
	.p2align	6, 0x0
	.amdhsa_kernel fft_rtc_back_len121_factors_11_11_wgs_121_tpt_11_dp_op_CI_CI_sbcc_twdbase6_3step_dirReg
		.amdhsa_group_segment_fixed_size 0
		.amdhsa_private_segment_fixed_size 0
		.amdhsa_kernarg_size 112
		.amdhsa_user_sgpr_count 6
		.amdhsa_user_sgpr_private_segment_buffer 1
		.amdhsa_user_sgpr_dispatch_ptr 0
		.amdhsa_user_sgpr_queue_ptr 0
		.amdhsa_user_sgpr_kernarg_segment_ptr 1
		.amdhsa_user_sgpr_dispatch_id 0
		.amdhsa_user_sgpr_flat_scratch_init 0
		.amdhsa_user_sgpr_private_segment_size 0
		.amdhsa_uses_dynamic_stack 0
		.amdhsa_system_sgpr_private_segment_wavefront_offset 0
		.amdhsa_system_sgpr_workgroup_id_x 1
		.amdhsa_system_sgpr_workgroup_id_y 0
		.amdhsa_system_sgpr_workgroup_id_z 0
		.amdhsa_system_sgpr_workgroup_info 0
		.amdhsa_system_vgpr_workitem_id 0
		.amdhsa_next_free_vgpr 254
		.amdhsa_next_free_sgpr 55
		.amdhsa_reserve_vcc 1
		.amdhsa_reserve_flat_scratch 0
		.amdhsa_float_round_mode_32 0
		.amdhsa_float_round_mode_16_64 0
		.amdhsa_float_denorm_mode_32 3
		.amdhsa_float_denorm_mode_16_64 3
		.amdhsa_dx10_clamp 1
		.amdhsa_ieee_mode 1
		.amdhsa_fp16_overflow 0
		.amdhsa_exception_fp_ieee_invalid_op 0
		.amdhsa_exception_fp_denorm_src 0
		.amdhsa_exception_fp_ieee_div_zero 0
		.amdhsa_exception_fp_ieee_overflow 0
		.amdhsa_exception_fp_ieee_underflow 0
		.amdhsa_exception_fp_ieee_inexact 0
		.amdhsa_exception_int_div_zero 0
	.end_amdhsa_kernel
	.text
.Lfunc_end0:
	.size	fft_rtc_back_len121_factors_11_11_wgs_121_tpt_11_dp_op_CI_CI_sbcc_twdbase6_3step_dirReg, .Lfunc_end0-fft_rtc_back_len121_factors_11_11_wgs_121_tpt_11_dp_op_CI_CI_sbcc_twdbase6_3step_dirReg
                                        ; -- End function
	.section	.AMDGPU.csdata,"",@progbits
; Kernel info:
; codeLenInByte = 10620
; NumSgprs: 59
; NumVgprs: 254
; ScratchSize: 0
; MemoryBound: 1
; FloatMode: 240
; IeeeMode: 1
; LDSByteSize: 0 bytes/workgroup (compile time only)
; SGPRBlocks: 7
; VGPRBlocks: 63
; NumSGPRsForWavesPerEU: 59
; NumVGPRsForWavesPerEU: 254
; Occupancy: 1
; WaveLimiterHint : 1
; COMPUTE_PGM_RSRC2:SCRATCH_EN: 0
; COMPUTE_PGM_RSRC2:USER_SGPR: 6
; COMPUTE_PGM_RSRC2:TRAP_HANDLER: 0
; COMPUTE_PGM_RSRC2:TGID_X_EN: 1
; COMPUTE_PGM_RSRC2:TGID_Y_EN: 0
; COMPUTE_PGM_RSRC2:TGID_Z_EN: 0
; COMPUTE_PGM_RSRC2:TIDIG_COMP_CNT: 0
	.type	__hip_cuid_a553c7c955c2ef18,@object ; @__hip_cuid_a553c7c955c2ef18
	.section	.bss,"aw",@nobits
	.globl	__hip_cuid_a553c7c955c2ef18
__hip_cuid_a553c7c955c2ef18:
	.byte	0                               ; 0x0
	.size	__hip_cuid_a553c7c955c2ef18, 1

	.ident	"AMD clang version 19.0.0git (https://github.com/RadeonOpenCompute/llvm-project roc-6.4.0 25133 c7fe45cf4b819c5991fe208aaa96edf142730f1d)"
	.section	".note.GNU-stack","",@progbits
	.addrsig
	.addrsig_sym __hip_cuid_a553c7c955c2ef18
	.amdgpu_metadata
---
amdhsa.kernels:
  - .args:
      - .actual_access:  read_only
        .address_space:  global
        .offset:         0
        .size:           8
        .value_kind:     global_buffer
      - .address_space:  global
        .offset:         8
        .size:           8
        .value_kind:     global_buffer
      - .offset:         16
        .size:           8
        .value_kind:     by_value
      - .actual_access:  read_only
        .address_space:  global
        .offset:         24
        .size:           8
        .value_kind:     global_buffer
      - .actual_access:  read_only
        .address_space:  global
        .offset:         32
        .size:           8
        .value_kind:     global_buffer
      - .actual_access:  read_only
        .address_space:  global
        .offset:         40
        .size:           8
        .value_kind:     global_buffer
      - .offset:         48
        .size:           8
        .value_kind:     by_value
      - .actual_access:  read_only
        .address_space:  global
        .offset:         56
        .size:           8
        .value_kind:     global_buffer
      - .actual_access:  read_only
        .address_space:  global
        .offset:         64
        .size:           8
        .value_kind:     global_buffer
      - .offset:         72
        .size:           4
        .value_kind:     by_value
      - .actual_access:  read_only
        .address_space:  global
        .offset:         80
        .size:           8
        .value_kind:     global_buffer
      - .actual_access:  read_only
        .address_space:  global
        .offset:         88
        .size:           8
        .value_kind:     global_buffer
      - .actual_access:  read_only
        .address_space:  global
        .offset:         96
        .size:           8
        .value_kind:     global_buffer
      - .actual_access:  write_only
        .address_space:  global
        .offset:         104
        .size:           8
        .value_kind:     global_buffer
    .group_segment_fixed_size: 0
    .kernarg_segment_align: 8
    .kernarg_segment_size: 112
    .language:       OpenCL C
    .language_version:
      - 2
      - 0
    .max_flat_workgroup_size: 121
    .name:           fft_rtc_back_len121_factors_11_11_wgs_121_tpt_11_dp_op_CI_CI_sbcc_twdbase6_3step_dirReg
    .private_segment_fixed_size: 0
    .sgpr_count:     59
    .sgpr_spill_count: 0
    .symbol:         fft_rtc_back_len121_factors_11_11_wgs_121_tpt_11_dp_op_CI_CI_sbcc_twdbase6_3step_dirReg.kd
    .uniform_work_group_size: 1
    .uses_dynamic_stack: false
    .vgpr_count:     254
    .vgpr_spill_count: 0
    .wavefront_size: 64
amdhsa.target:   amdgcn-amd-amdhsa--gfx906
amdhsa.version:
  - 1
  - 2
...

	.end_amdgpu_metadata
